;; amdgpu-corpus repo=ROCm/rocFFT kind=compiled arch=gfx1201 opt=O3
	.text
	.amdgcn_target "amdgcn-amd-amdhsa--gfx1201"
	.amdhsa_code_object_version 6
	.protected	fft_rtc_back_len884_factors_13_4_17_wgs_204_tpt_68_halfLds_dp_ip_CI_sbrr_dirReg ; -- Begin function fft_rtc_back_len884_factors_13_4_17_wgs_204_tpt_68_halfLds_dp_ip_CI_sbrr_dirReg
	.globl	fft_rtc_back_len884_factors_13_4_17_wgs_204_tpt_68_halfLds_dp_ip_CI_sbrr_dirReg
	.p2align	8
	.type	fft_rtc_back_len884_factors_13_4_17_wgs_204_tpt_68_halfLds_dp_ip_CI_sbrr_dirReg,@function
fft_rtc_back_len884_factors_13_4_17_wgs_204_tpt_68_halfLds_dp_ip_CI_sbrr_dirReg: ; @fft_rtc_back_len884_factors_13_4_17_wgs_204_tpt_68_halfLds_dp_ip_CI_sbrr_dirReg
; %bb.0:
	s_clause 0x1
	s_load_b64 s[12:13], s[0:1], 0x18
	s_load_b128 s[4:7], s[0:1], 0x0
	v_mul_u32_u24_e32 v1, 0x3c4, v0
	v_mov_b32_e32 v3, 0
	s_load_b64 s[10:11], s[0:1], 0x50
	s_wait_kmcnt 0x0
	s_load_b64 s[8:9], s[12:13], 0x0
	v_lshrrev_b32_e32 v1, 16, v1
	v_cmp_lt_u64_e64 s2, s[6:7], 2
	s_delay_alu instid0(VALU_DEP_2) | instskip(SKIP_2) | instid1(VALU_DEP_4)
	v_mad_co_u64_u32 v[52:53], null, ttmp9, 3, v[1:2]
	v_mov_b32_e32 v1, 0
	v_dual_mov_b32 v2, 0 :: v_dual_mov_b32 v53, v3
	s_and_b32 vcc_lo, exec_lo, s2
	s_delay_alu instid0(VALU_DEP_1)
	v_dual_mov_b32 v7, v52 :: v_dual_mov_b32 v8, v53
	s_cbranch_vccnz .LBB0_8
; %bb.1:
	s_load_b64 s[2:3], s[0:1], 0x10
	v_mov_b32_e32 v1, 0
	v_dual_mov_b32 v2, 0 :: v_dual_mov_b32 v5, v52
	v_mov_b32_e32 v6, v53
	s_add_nc_u64 s[14:15], s[12:13], 8
	s_mov_b64 s[16:17], 1
	s_wait_kmcnt 0x0
	s_add_nc_u64 s[18:19], s[2:3], 8
	s_mov_b32 s3, 0
.LBB0_2:                                ; =>This Inner Loop Header: Depth=1
	s_load_b64 s[20:21], s[18:19], 0x0
                                        ; implicit-def: $vgpr7_vgpr8
	s_mov_b32 s2, exec_lo
	s_wait_kmcnt 0x0
	v_or_b32_e32 v4, s21, v6
	s_delay_alu instid0(VALU_DEP_1)
	v_cmpx_ne_u64_e32 0, v[3:4]
	s_wait_alu 0xfffe
	s_xor_b32 s22, exec_lo, s2
	s_cbranch_execz .LBB0_4
; %bb.3:                                ;   in Loop: Header=BB0_2 Depth=1
	s_cvt_f32_u32 s2, s20
	s_cvt_f32_u32 s23, s21
	s_sub_nc_u64 s[26:27], 0, s[20:21]
	s_wait_alu 0xfffe
	s_delay_alu instid0(SALU_CYCLE_1) | instskip(SKIP_1) | instid1(SALU_CYCLE_2)
	s_fmamk_f32 s2, s23, 0x4f800000, s2
	s_wait_alu 0xfffe
	v_s_rcp_f32 s2, s2
	s_delay_alu instid0(TRANS32_DEP_1) | instskip(SKIP_1) | instid1(SALU_CYCLE_2)
	s_mul_f32 s2, s2, 0x5f7ffffc
	s_wait_alu 0xfffe
	s_mul_f32 s23, s2, 0x2f800000
	s_wait_alu 0xfffe
	s_delay_alu instid0(SALU_CYCLE_2) | instskip(SKIP_1) | instid1(SALU_CYCLE_2)
	s_trunc_f32 s23, s23
	s_wait_alu 0xfffe
	s_fmamk_f32 s2, s23, 0xcf800000, s2
	s_cvt_u32_f32 s25, s23
	s_wait_alu 0xfffe
	s_delay_alu instid0(SALU_CYCLE_1) | instskip(SKIP_1) | instid1(SALU_CYCLE_2)
	s_cvt_u32_f32 s24, s2
	s_wait_alu 0xfffe
	s_mul_u64 s[28:29], s[26:27], s[24:25]
	s_wait_alu 0xfffe
	s_mul_hi_u32 s31, s24, s29
	s_mul_i32 s30, s24, s29
	s_mul_hi_u32 s2, s24, s28
	s_mul_i32 s33, s25, s28
	s_wait_alu 0xfffe
	s_add_nc_u64 s[30:31], s[2:3], s[30:31]
	s_mul_hi_u32 s23, s25, s28
	s_mul_hi_u32 s34, s25, s29
	s_add_co_u32 s2, s30, s33
	s_wait_alu 0xfffe
	s_add_co_ci_u32 s2, s31, s23
	s_mul_i32 s28, s25, s29
	s_add_co_ci_u32 s29, s34, 0
	s_wait_alu 0xfffe
	s_add_nc_u64 s[28:29], s[2:3], s[28:29]
	s_wait_alu 0xfffe
	v_add_co_u32 v4, s2, s24, s28
	s_delay_alu instid0(VALU_DEP_1) | instskip(SKIP_1) | instid1(VALU_DEP_1)
	s_cmp_lg_u32 s2, 0
	s_add_co_ci_u32 s25, s25, s29
	v_readfirstlane_b32 s24, v4
	s_wait_alu 0xfffe
	s_delay_alu instid0(VALU_DEP_1)
	s_mul_u64 s[26:27], s[26:27], s[24:25]
	s_wait_alu 0xfffe
	s_mul_hi_u32 s29, s24, s27
	s_mul_i32 s28, s24, s27
	s_mul_hi_u32 s2, s24, s26
	s_mul_i32 s30, s25, s26
	s_wait_alu 0xfffe
	s_add_nc_u64 s[28:29], s[2:3], s[28:29]
	s_mul_hi_u32 s23, s25, s26
	s_mul_hi_u32 s24, s25, s27
	s_wait_alu 0xfffe
	s_add_co_u32 s2, s28, s30
	s_add_co_ci_u32 s2, s29, s23
	s_mul_i32 s26, s25, s27
	s_add_co_ci_u32 s27, s24, 0
	s_wait_alu 0xfffe
	s_add_nc_u64 s[26:27], s[2:3], s[26:27]
	s_wait_alu 0xfffe
	v_add_co_u32 v4, s2, v4, s26
	s_delay_alu instid0(VALU_DEP_1) | instskip(SKIP_1) | instid1(VALU_DEP_1)
	s_cmp_lg_u32 s2, 0
	s_add_co_ci_u32 s2, s25, s27
	v_mul_hi_u32 v13, v5, v4
	s_wait_alu 0xfffe
	v_mad_co_u64_u32 v[7:8], null, v5, s2, 0
	v_mad_co_u64_u32 v[9:10], null, v6, v4, 0
	;; [unrolled: 1-line block ×3, first 2 shown]
	s_delay_alu instid0(VALU_DEP_3) | instskip(SKIP_1) | instid1(VALU_DEP_4)
	v_add_co_u32 v4, vcc_lo, v13, v7
	s_wait_alu 0xfffd
	v_add_co_ci_u32_e32 v7, vcc_lo, 0, v8, vcc_lo
	s_delay_alu instid0(VALU_DEP_2) | instskip(SKIP_1) | instid1(VALU_DEP_2)
	v_add_co_u32 v4, vcc_lo, v4, v9
	s_wait_alu 0xfffd
	v_add_co_ci_u32_e32 v4, vcc_lo, v7, v10, vcc_lo
	s_wait_alu 0xfffd
	v_add_co_ci_u32_e32 v7, vcc_lo, 0, v12, vcc_lo
	s_delay_alu instid0(VALU_DEP_2) | instskip(SKIP_1) | instid1(VALU_DEP_2)
	v_add_co_u32 v4, vcc_lo, v4, v11
	s_wait_alu 0xfffd
	v_add_co_ci_u32_e32 v9, vcc_lo, 0, v7, vcc_lo
	s_delay_alu instid0(VALU_DEP_2) | instskip(SKIP_1) | instid1(VALU_DEP_3)
	v_mul_lo_u32 v10, s21, v4
	v_mad_co_u64_u32 v[7:8], null, s20, v4, 0
	v_mul_lo_u32 v11, s20, v9
	s_delay_alu instid0(VALU_DEP_2) | instskip(NEXT) | instid1(VALU_DEP_2)
	v_sub_co_u32 v7, vcc_lo, v5, v7
	v_add3_u32 v8, v8, v11, v10
	s_delay_alu instid0(VALU_DEP_1) | instskip(SKIP_1) | instid1(VALU_DEP_1)
	v_sub_nc_u32_e32 v10, v6, v8
	s_wait_alu 0xfffd
	v_subrev_co_ci_u32_e64 v10, s2, s21, v10, vcc_lo
	v_add_co_u32 v11, s2, v4, 2
	s_wait_alu 0xf1ff
	v_add_co_ci_u32_e64 v12, s2, 0, v9, s2
	v_sub_co_u32 v13, s2, v7, s20
	v_sub_co_ci_u32_e32 v8, vcc_lo, v6, v8, vcc_lo
	s_wait_alu 0xf1ff
	v_subrev_co_ci_u32_e64 v10, s2, 0, v10, s2
	s_delay_alu instid0(VALU_DEP_3) | instskip(NEXT) | instid1(VALU_DEP_3)
	v_cmp_le_u32_e32 vcc_lo, s20, v13
	v_cmp_eq_u32_e64 s2, s21, v8
	s_wait_alu 0xfffd
	v_cndmask_b32_e64 v13, 0, -1, vcc_lo
	v_cmp_le_u32_e32 vcc_lo, s21, v10
	s_wait_alu 0xfffd
	v_cndmask_b32_e64 v14, 0, -1, vcc_lo
	v_cmp_le_u32_e32 vcc_lo, s20, v7
	;; [unrolled: 3-line block ×3, first 2 shown]
	s_wait_alu 0xfffd
	v_cndmask_b32_e64 v15, 0, -1, vcc_lo
	v_cmp_eq_u32_e32 vcc_lo, s21, v10
	s_wait_alu 0xf1ff
	s_delay_alu instid0(VALU_DEP_2)
	v_cndmask_b32_e64 v7, v15, v7, s2
	s_wait_alu 0xfffd
	v_cndmask_b32_e32 v10, v14, v13, vcc_lo
	v_add_co_u32 v13, vcc_lo, v4, 1
	s_wait_alu 0xfffd
	v_add_co_ci_u32_e32 v14, vcc_lo, 0, v9, vcc_lo
	s_delay_alu instid0(VALU_DEP_3) | instskip(SKIP_2) | instid1(VALU_DEP_3)
	v_cmp_ne_u32_e32 vcc_lo, 0, v10
	s_wait_alu 0xfffd
	v_cndmask_b32_e32 v10, v13, v11, vcc_lo
	v_cndmask_b32_e32 v8, v14, v12, vcc_lo
	v_cmp_ne_u32_e32 vcc_lo, 0, v7
	s_wait_alu 0xfffd
	s_delay_alu instid0(VALU_DEP_2)
	v_dual_cndmask_b32 v7, v4, v10 :: v_dual_cndmask_b32 v8, v9, v8
.LBB0_4:                                ;   in Loop: Header=BB0_2 Depth=1
	s_wait_alu 0xfffe
	s_and_not1_saveexec_b32 s2, s22
	s_cbranch_execz .LBB0_6
; %bb.5:                                ;   in Loop: Header=BB0_2 Depth=1
	v_cvt_f32_u32_e32 v4, s20
	s_sub_co_i32 s22, 0, s20
	s_delay_alu instid0(VALU_DEP_1) | instskip(NEXT) | instid1(TRANS32_DEP_1)
	v_rcp_iflag_f32_e32 v4, v4
	v_mul_f32_e32 v4, 0x4f7ffffe, v4
	s_delay_alu instid0(VALU_DEP_1) | instskip(SKIP_1) | instid1(VALU_DEP_1)
	v_cvt_u32_f32_e32 v4, v4
	s_wait_alu 0xfffe
	v_mul_lo_u32 v7, s22, v4
	s_delay_alu instid0(VALU_DEP_1) | instskip(NEXT) | instid1(VALU_DEP_1)
	v_mul_hi_u32 v7, v4, v7
	v_add_nc_u32_e32 v4, v4, v7
	s_delay_alu instid0(VALU_DEP_1) | instskip(NEXT) | instid1(VALU_DEP_1)
	v_mul_hi_u32 v4, v5, v4
	v_mul_lo_u32 v7, v4, s20
	v_add_nc_u32_e32 v8, 1, v4
	s_delay_alu instid0(VALU_DEP_2) | instskip(NEXT) | instid1(VALU_DEP_1)
	v_sub_nc_u32_e32 v7, v5, v7
	v_subrev_nc_u32_e32 v9, s20, v7
	v_cmp_le_u32_e32 vcc_lo, s20, v7
	s_wait_alu 0xfffd
	s_delay_alu instid0(VALU_DEP_2) | instskip(NEXT) | instid1(VALU_DEP_1)
	v_dual_cndmask_b32 v7, v7, v9 :: v_dual_cndmask_b32 v4, v4, v8
	v_cmp_le_u32_e32 vcc_lo, s20, v7
	s_delay_alu instid0(VALU_DEP_2) | instskip(SKIP_1) | instid1(VALU_DEP_1)
	v_add_nc_u32_e32 v8, 1, v4
	s_wait_alu 0xfffd
	v_dual_cndmask_b32 v7, v4, v8 :: v_dual_mov_b32 v8, v3
.LBB0_6:                                ;   in Loop: Header=BB0_2 Depth=1
	s_wait_alu 0xfffe
	s_or_b32 exec_lo, exec_lo, s2
	s_load_b64 s[22:23], s[14:15], 0x0
	s_delay_alu instid0(VALU_DEP_1)
	v_mul_lo_u32 v4, v8, s20
	v_mul_lo_u32 v11, v7, s21
	v_mad_co_u64_u32 v[9:10], null, v7, s20, 0
	s_add_nc_u64 s[16:17], s[16:17], 1
	s_add_nc_u64 s[14:15], s[14:15], 8
	s_wait_alu 0xfffe
	v_cmp_ge_u64_e64 s2, s[16:17], s[6:7]
	s_add_nc_u64 s[18:19], s[18:19], 8
	s_delay_alu instid0(VALU_DEP_2) | instskip(NEXT) | instid1(VALU_DEP_3)
	v_add3_u32 v4, v10, v11, v4
	v_sub_co_u32 v5, vcc_lo, v5, v9
	s_wait_alu 0xfffd
	s_delay_alu instid0(VALU_DEP_2) | instskip(SKIP_3) | instid1(VALU_DEP_2)
	v_sub_co_ci_u32_e32 v4, vcc_lo, v6, v4, vcc_lo
	s_and_b32 vcc_lo, exec_lo, s2
	s_wait_kmcnt 0x0
	v_mul_lo_u32 v6, s23, v5
	v_mul_lo_u32 v4, s22, v4
	v_mad_co_u64_u32 v[1:2], null, s22, v5, v[1:2]
	s_delay_alu instid0(VALU_DEP_1)
	v_add3_u32 v2, v6, v2, v4
	s_wait_alu 0xfffe
	s_cbranch_vccnz .LBB0_8
; %bb.7:                                ;   in Loop: Header=BB0_2 Depth=1
	v_dual_mov_b32 v5, v7 :: v_dual_mov_b32 v6, v8
	s_branch .LBB0_2
.LBB0_8:
	s_lshl_b64 s[2:3], s[6:7], 3
	v_mul_hi_u32 v3, 0x3c3c3c4, v0
	s_wait_alu 0xfffe
	s_add_nc_u64 s[2:3], s[12:13], s[2:3]
	s_load_b64 s[0:1], s[0:1], 0x20
	s_load_b64 s[2:3], s[2:3], 0x0
	s_delay_alu instid0(VALU_DEP_1) | instskip(NEXT) | instid1(VALU_DEP_1)
	v_mul_u32_u24_e32 v3, 0x44, v3
	v_sub_nc_u32_e32 v146, v0, v3
	s_delay_alu instid0(VALU_DEP_1)
	v_add_nc_u32_e32 v72, 0x44, v146
	v_add_nc_u32_e32 v73, 0x88, v146
	;; [unrolled: 1-line block ×3, first 2 shown]
	s_wait_kmcnt 0x0
	v_cmp_gt_u64_e32 vcc_lo, s[0:1], v[7:8]
	v_mul_lo_u32 v3, s2, v8
	v_mul_lo_u32 v4, s3, v7
	v_mad_co_u64_u32 v[0:1], null, s2, v7, v[1:2]
	v_cmp_le_u64_e64 s0, s[0:1], v[7:8]
	s_delay_alu instid0(VALU_DEP_2) | instskip(NEXT) | instid1(VALU_DEP_2)
	v_add3_u32 v1, v4, v1, v3
	s_and_saveexec_b32 s1, s0
	s_wait_alu 0xfffe
	s_xor_b32 s0, exec_lo, s1
; %bb.9:
	v_add_nc_u32_e32 v72, 0x44, v146
	v_add_nc_u32_e32 v73, 0x88, v146
	;; [unrolled: 1-line block ×3, first 2 shown]
; %bb.10:
	s_wait_alu 0xfffe
	s_or_saveexec_b32 s1, s0
	v_lshlrev_b64_e32 v[161:162], 4, v[0:1]
                                        ; implicit-def: $vgpr34_vgpr35
                                        ; implicit-def: $vgpr46_vgpr47
                                        ; implicit-def: $vgpr14_vgpr15
                                        ; implicit-def: $vgpr22_vgpr23
                                        ; implicit-def: $vgpr30_vgpr31
                                        ; implicit-def: $vgpr18_vgpr19
                                        ; implicit-def: $vgpr6_vgpr7
                                        ; implicit-def: $vgpr10_vgpr11
                                        ; implicit-def: $vgpr50_vgpr51
                                        ; implicit-def: $vgpr26_vgpr27
                                        ; implicit-def: $vgpr38_vgpr39
                                        ; implicit-def: $vgpr42_vgpr43
                                        ; implicit-def: $vgpr2_vgpr3
	s_wait_alu 0xfffe
	s_xor_b32 exec_lo, exec_lo, s1
	s_cbranch_execz .LBB0_12
; %bb.11:
	v_mad_co_u64_u32 v[0:1], null, s8, v146, 0
	v_mad_co_u64_u32 v[2:3], null, s8, v72, 0
	;; [unrolled: 1-line block ×3, first 2 shown]
	v_add_co_u32 v50, s0, s10, v161
	v_add_nc_u32_e32 v14, 0x110, v146
	s_wait_alu 0xf1ff
	v_add_co_ci_u32_e64 v51, s0, s11, v162, s0
	v_mad_co_u64_u32 v[4:5], null, s9, v146, v[1:2]
	v_mov_b32_e32 v1, v3
	v_mad_co_u64_u32 v[5:6], null, s8, v73, 0
	v_add_nc_u32_e32 v16, 0x154, v146
	v_add_nc_u32_e32 v18, 0x198, v146
	s_delay_alu instid0(VALU_DEP_4) | instskip(SKIP_3) | instid1(VALU_DEP_3)
	v_mad_co_u64_u32 v[9:10], null, s9, v72, v[1:2]
	v_mov_b32_e32 v1, v4
	v_dual_mov_b32 v4, v6 :: v_dual_add_nc_u32 v19, 0x1dc, v146
	v_dual_mov_b32 v6, v8 :: v_dual_add_nc_u32 v21, 0x2a8, v146
	v_lshlrev_b64_e32 v[0:1], 4, v[0:1]
	v_mov_b32_e32 v3, v9
	s_delay_alu instid0(VALU_DEP_4) | instskip(NEXT) | instid1(VALU_DEP_4)
	v_mad_co_u64_u32 v[8:9], null, s9, v73, v[4:5]
	v_mad_co_u64_u32 v[11:12], null, s9, v108, v[6:7]
	s_delay_alu instid0(VALU_DEP_3) | instskip(SKIP_4) | instid1(VALU_DEP_4)
	v_lshlrev_b64_e32 v[2:3], 4, v[2:3]
	v_add_co_u32 v0, s0, v50, v0
	v_mad_co_u64_u32 v[12:13], null, s8, v14, 0
	s_wait_alu 0xf1ff
	v_add_co_ci_u32_e64 v1, s0, v51, v1, s0
	v_add_co_u32 v9, s0, v50, v2
	v_mov_b32_e32 v6, v8
	v_mov_b32_e32 v8, v11
	s_wait_alu 0xf1ff
	v_add_co_ci_u32_e64 v10, s0, v51, v3, s0
	s_clause 0x1
	global_load_b128 v[0:3], v[0:1], off
	global_load_b128 v[32:35], v[9:10], off
	v_lshlrev_b64_e32 v[4:5], 4, v[5:6]
	v_lshlrev_b64_e32 v[7:8], 4, v[7:8]
	v_mov_b32_e32 v6, v13
	v_mad_co_u64_u32 v[9:10], null, s8, v16, 0
	v_add_nc_u32_e32 v53, 0x2ec, v146
	v_add_co_u32 v4, s0, v50, v4
	s_delay_alu instid0(VALU_DEP_4)
	v_mad_co_u64_u32 v[13:14], null, s9, v14, v[6:7]
	v_mad_co_u64_u32 v[14:15], null, s8, v18, 0
	s_wait_alu 0xf1ff
	v_add_co_ci_u32_e64 v5, s0, v51, v5, s0
	v_mov_b32_e32 v6, v10
	v_add_co_u32 v7, s0, v50, v7
	s_wait_alu 0xf1ff
	v_add_co_ci_u32_e64 v8, s0, v51, v8, s0
	s_clause 0x1
	global_load_b128 v[44:47], v[4:5], off
	global_load_b128 v[40:43], v[7:8], off
	v_mad_co_u64_u32 v[10:11], null, s9, v16, v[6:7]
	v_mad_co_u64_u32 v[16:17], null, s8, v19, 0
	v_mov_b32_e32 v6, v15
	v_lshlrev_b64_e32 v[4:5], 4, v[12:13]
	v_add_nc_u32_e32 v11, 0x220, v146
	v_mad_co_u64_u32 v[28:29], null, s8, v53, 0
	s_delay_alu instid0(VALU_DEP_4)
	v_mad_co_u64_u32 v[6:7], null, s9, v18, v[6:7]
	v_lshlrev_b64_e32 v[8:9], 4, v[9:10]
	v_mov_b32_e32 v7, v17
	v_add_co_u32 v4, s0, v50, v4
	s_wait_alu 0xf1ff
	v_add_co_ci_u32_e64 v5, s0, v51, v5, s0
	v_mov_b32_e32 v15, v6
	v_mad_co_u64_u32 v[6:7], null, s9, v19, v[7:8]
	v_mad_co_u64_u32 v[18:19], null, s8, v11, 0
	v_add_co_u32 v7, s0, v50, v8
	s_wait_alu 0xf1ff
	v_add_co_ci_u32_e64 v8, s0, v51, v9, s0
	s_delay_alu instid0(VALU_DEP_4)
	v_mov_b32_e32 v17, v6
	v_lshlrev_b64_e32 v[9:10], 4, v[14:15]
	s_clause 0x1
	global_load_b128 v[36:39], v[4:5], off
	global_load_b128 v[12:15], v[7:8], off
	v_mov_b32_e32 v6, v19
	v_lshlrev_b64_e32 v[7:8], 4, v[16:17]
	v_mad_co_u64_u32 v[16:17], null, s8, v21, 0
	v_add_co_u32 v4, s0, v50, v9
	s_wait_alu 0xf1ff
	v_add_co_ci_u32_e64 v5, s0, v51, v10, s0
	s_delay_alu instid0(VALU_DEP_4) | instskip(SKIP_4) | instid1(VALU_DEP_4)
	v_mad_co_u64_u32 v[9:10], null, s9, v11, v[6:7]
	v_add_nc_u32_e32 v20, 0x264, v146
	v_add_co_u32 v6, s0, v50, v7
	s_wait_alu 0xf1ff
	v_add_co_ci_u32_e64 v7, s0, v51, v8, s0
	v_mov_b32_e32 v19, v9
	v_mov_b32_e32 v9, v17
	v_mad_co_u64_u32 v[10:11], null, s8, v20, 0
	s_delay_alu instid0(VALU_DEP_1) | instskip(NEXT) | instid1(VALU_DEP_1)
	v_mov_b32_e32 v8, v11
	v_mad_co_u64_u32 v[30:31], null, s9, v20, v[8:9]
	s_delay_alu instid0(VALU_DEP_3)
	v_mad_co_u64_u32 v[8:9], null, s9, v21, v[9:10]
	v_add_nc_u32_e32 v54, 0x330, v146
	s_clause 0x1
	global_load_b128 v[20:23], v[4:5], off
	global_load_b128 v[24:27], v[6:7], off
	v_lshlrev_b64_e32 v[5:6], 4, v[18:19]
	v_dual_mov_b32 v4, v29 :: v_dual_mov_b32 v11, v30
	v_mov_b32_e32 v17, v8
	v_mad_co_u64_u32 v[48:49], null, s8, v54, 0
	s_delay_alu instid0(VALU_DEP_3)
	v_mad_co_u64_u32 v[7:8], null, s9, v53, v[4:5]
	v_add_co_u32 v5, s0, v50, v5
	v_lshlrev_b64_e32 v[8:9], 4, v[10:11]
	v_lshlrev_b64_e32 v[16:17], 4, v[16:17]
	v_mov_b32_e32 v4, v49
	s_wait_alu 0xf1ff
	v_add_co_ci_u32_e64 v6, s0, v51, v6, s0
	v_mov_b32_e32 v29, v7
	v_add_co_u32 v7, s0, v50, v8
	v_mad_co_u64_u32 v[10:11], null, s9, v54, v[4:5]
	s_wait_alu 0xf1ff
	v_add_co_ci_u32_e64 v8, s0, v51, v9, s0
	v_lshlrev_b64_e32 v[18:19], 4, v[28:29]
	v_add_co_u32 v9, s0, v50, v16
	s_delay_alu instid0(VALU_DEP_4) | instskip(SKIP_2) | instid1(VALU_DEP_4)
	v_mov_b32_e32 v49, v10
	s_wait_alu 0xf1ff
	v_add_co_ci_u32_e64 v10, s0, v51, v17, s0
	v_add_co_u32 v53, s0, v50, v18
	s_delay_alu instid0(VALU_DEP_3) | instskip(SKIP_2) | instid1(VALU_DEP_2)
	v_lshlrev_b64_e32 v[16:17], 4, v[48:49]
	s_wait_alu 0xf1ff
	v_add_co_ci_u32_e64 v54, s0, v51, v19, s0
	v_add_co_u32 v55, s0, v50, v16
	s_wait_alu 0xf1ff
	s_delay_alu instid0(VALU_DEP_3)
	v_add_co_ci_u32_e64 v56, s0, v51, v17, s0
	s_clause 0x4
	global_load_b128 v[48:51], v[5:6], off
	global_load_b128 v[28:31], v[7:8], off
	;; [unrolled: 1-line block ×5, first 2 shown]
.LBB0_12:
	s_or_b32 exec_lo, exec_lo, s1
	s_wait_loadcnt 0xb
	v_add_f64_e32 v[53:54], v[32:33], v[0:1]
	s_wait_loadcnt 0x0
	v_add_f64_e64 v[55:56], v[34:35], -v[6:7]
	s_mov_b32 s44, 0x4267c47c
	s_mov_b32 s30, 0x42a4c3d2
	;; [unrolled: 1-line block ×10, first 2 shown]
	v_add_f64_e64 v[57:58], v[46:47], -v[10:11]
	v_add_f64_e32 v[59:60], v[32:33], v[4:5]
	s_mov_b32 s36, 0x66966769
	s_mov_b32 s37, 0xbfefc445
	;; [unrolled: 1-line block ×13, first 2 shown]
	s_wait_alu 0xfffe
	s_mov_b32 s40, s24
	s_mov_b32 s22, s36
	;; [unrolled: 1-line block ×6, first 2 shown]
	v_add_f64_e64 v[74:75], v[42:43], -v[18:19]
	v_add_f64_e32 v[76:77], v[44:45], v[8:9]
	s_mov_b32 s3, 0x3fbedb7d
	s_mov_b32 s43, 0x3fedeba7
	;; [unrolled: 1-line block ×3, first 2 shown]
	v_add_f64_e32 v[53:54], v[44:45], v[53:54]
	v_mul_f64_e32 v[61:62], s[44:45], v[55:56]
	v_mul_f64_e32 v[63:64], s[30:31], v[55:56]
	;; [unrolled: 1-line block ×6, first 2 shown]
	v_add_f64_e64 v[102:103], v[38:39], -v[30:31]
	s_mov_b32 s39, 0x3fcea1e5
	s_mov_b32 s38, s26
	;; [unrolled: 1-line block ×4, first 2 shown]
	v_mul_f64_e32 v[78:79], s[30:31], v[57:58]
	v_mul_f64_e32 v[82:83], s[20:21], v[57:58]
	;; [unrolled: 1-line block ×4, first 2 shown]
	s_wait_alu 0xfffe
	v_mul_f64_e32 v[88:89], s[22:23], v[57:58]
	v_mul_f64_e32 v[57:58], s[28:29], v[57:58]
	v_mul_hi_u32 v71, 0xaaaaaaab, v52
	v_cmp_gt_u32_e64 s0, 17, v146
	s_delay_alu instid0(VALU_DEP_2) | instskip(NEXT) | instid1(VALU_DEP_1)
	v_lshrrev_b32_e32 v71, 1, v71
	v_lshl_add_u32 v71, v71, 1, v71
	v_mul_f64_e32 v[104:105], s[36:37], v[74:75]
	v_mul_f64_e32 v[106:107], s[26:27], v[74:75]
	;; [unrolled: 1-line block ×5, first 2 shown]
	v_add_f64_e32 v[53:54], v[40:41], v[53:54]
	v_fma_f64 v[90:91], v[59:60], s[14:15], v[61:62]
	v_fma_f64 v[61:62], v[59:60], s[14:15], -v[61:62]
	v_fma_f64 v[92:93], v[59:60], s[6:7], -v[63:64]
	v_fma_f64 v[94:95], v[59:60], s[12:13], v[65:66]
	v_fma_f64 v[96:97], v[59:60], s[16:17], v[67:68]
	v_fma_f64 v[65:66], v[59:60], s[12:13], -v[65:66]
	v_fma_f64 v[98:99], v[59:60], s[18:19], v[69:70]
	v_fma_f64 v[69:70], v[59:60], s[18:19], -v[69:70]
	v_fma_f64 v[67:68], v[59:60], s[16:17], -v[67:68]
	;; [unrolled: 1-line block ×3, first 2 shown]
	v_fma_f64 v[63:64], v[59:60], s[6:7], v[63:64]
	v_fma_f64 v[55:56], v[59:60], s[2:3], v[55:56]
	v_add_f64_e32 v[59:60], v[16:17], v[40:41]
	v_mul_f64_e32 v[74:75], s[24:25], v[74:75]
	v_fma_f64 v[115:116], v[76:77], s[6:7], v[78:79]
	v_fma_f64 v[78:79], v[76:77], s[6:7], -v[78:79]
	v_fma_f64 v[117:118], v[76:77], s[12:13], v[82:83]
	v_fma_f64 v[82:83], v[76:77], s[12:13], -v[82:83]
	;; [unrolled: 2-line block ×6, first 2 shown]
	v_mul_f64_e32 v[127:128], s[20:21], v[102:103]
	v_mul_f64_e32 v[131:132], s[28:29], v[102:103]
	;; [unrolled: 1-line block ×6, first 2 shown]
	v_add_f64_e32 v[53:54], v[36:37], v[53:54]
	v_add_f64_e32 v[76:77], v[90:91], v[0:1]
	;; [unrolled: 1-line block ×14, first 2 shown]
	v_add_f64_e64 v[100:101], v[14:15], -v[50:51]
	v_fma_f64 v[137:138], v[59:60], s[2:3], v[104:105]
	v_fma_f64 v[104:105], v[59:60], s[2:3], -v[104:105]
	v_fma_f64 v[139:140], v[59:60], s[18:19], v[106:107]
	v_fma_f64 v[106:107], v[59:60], s[18:19], -v[106:107]
	;; [unrolled: 2-line block ×6, first 2 shown]
	v_add_f64_e32 v[53:54], v[12:13], v[53:54]
	v_add_f64_e32 v[74:75], v[115:116], v[76:77]
	;; [unrolled: 1-line block ×14, first 2 shown]
	v_add_f64_e64 v[88:89], v[22:23], -v[26:27]
	v_mul_f64_e32 v[96:97], s[38:39], v[100:101]
	v_mul_f64_e32 v[98:99], s[28:29], v[100:101]
	v_fma_f64 v[115:116], v[55:56], s[12:13], v[127:128]
	v_fma_f64 v[117:118], v[55:56], s[12:13], -v[127:128]
	v_fma_f64 v[123:124], v[55:56], s[14:15], v[131:132]
	v_fma_f64 v[125:126], v[55:56], s[14:15], -v[131:132]
	v_fma_f64 v[127:128], v[55:56], s[2:3], v[133:134]
	v_fma_f64 v[131:132], v[55:56], s[18:19], v[135:136]
	v_mul_f64_e32 v[90:91], s[24:25], v[100:101]
	v_mul_f64_e32 v[92:93], s[22:23], v[100:101]
	;; [unrolled: 1-line block ×4, first 2 shown]
	v_fma_f64 v[119:120], v[55:56], s[16:17], v[129:130]
	v_fma_f64 v[121:122], v[55:56], s[16:17], -v[129:130]
	v_fma_f64 v[129:130], v[55:56], s[2:3], -v[133:134]
	;; [unrolled: 1-line block ×3, first 2 shown]
	v_fma_f64 v[135:136], v[55:56], s[6:7], v[102:103]
	v_fma_f64 v[55:56], v[55:56], s[6:7], -v[102:103]
	v_add_f64_e32 v[53:54], v[20:21], v[53:54]
	v_add_f64_e32 v[74:75], v[137:138], v[74:75]
	;; [unrolled: 1-line block ×14, first 2 shown]
	v_mul_f64_e32 v[102:103], s[26:27], v[88:89]
	v_mul_f64_e32 v[104:105], s[28:29], v[88:89]
	;; [unrolled: 1-line block ×6, first 2 shown]
	v_fma_f64 v[141:142], v[84:85], s[18:19], v[96:97]
	v_fma_f64 v[143:144], v[84:85], s[14:15], v[98:99]
	v_fma_f64 v[96:97], v[84:85], s[18:19], -v[96:97]
	v_fma_f64 v[113:114], v[84:85], s[16:17], v[90:91]
	v_fma_f64 v[90:91], v[84:85], s[16:17], -v[90:91]
	;; [unrolled: 2-line block ×4, first 2 shown]
	v_fma_f64 v[98:99], v[84:85], s[14:15], -v[98:99]
	v_fma_f64 v[147:148], v[84:85], s[12:13], v[100:101]
	v_fma_f64 v[84:85], v[84:85], s[12:13], -v[100:101]
	v_add_f64_e32 v[53:54], v[24:25], v[53:54]
	v_add_f64_e32 v[74:75], v[115:116], v[74:75]
	;; [unrolled: 1-line block ×13, first 2 shown]
	v_fma_f64 v[67:68], v[69:70], s[18:19], v[102:103]
	v_fma_f64 v[100:101], v[69:70], s[18:19], -v[102:103]
	v_fma_f64 v[102:103], v[69:70], s[14:15], v[104:105]
	v_fma_f64 v[104:105], v[69:70], s[14:15], -v[104:105]
	;; [unrolled: 2-line block ×6, first 2 shown]
	v_add_f64_e32 v[53:54], v[48:49], v[53:54]
	v_add_f64_e32 v[74:75], v[113:114], v[74:75]
	;; [unrolled: 1-line block ×13, first 2 shown]
                                        ; implicit-def: $vgpr92_vgpr93
	v_add_f64_e32 v[53:54], v[28:29], v[53:54]
	v_add_f64_e32 v[67:68], v[67:68], v[74:75]
	;; [unrolled: 1-line block ×13, first 2 shown]
	v_sub_nc_u32_e32 v0, v52, v71
	v_lshlrev_b32_e32 v79, 3, v108
	s_delay_alu instid0(VALU_DEP_2) | instskip(NEXT) | instid1(VALU_DEP_1)
	v_mul_u32_u24_e32 v80, 0x374, v0
	v_lshl_add_u32 v1, v80, 3, 0
	v_lshlrev_b32_e32 v111, 3, v80
	s_delay_alu instid0(VALU_DEP_2) | instskip(SKIP_3) | instid1(VALU_DEP_4)
	v_mad_u32_u24 v0, 0x68, v146, v1
	v_lshl_add_u32 v110, v146, 3, v1
	v_lshl_add_u32 v74, v72, 3, v1
	;; [unrolled: 1-line block ×3, first 2 shown]
	v_mad_i32_i24 v109, 0xffffffa0, v146, v0
	s_delay_alu instid0(VALU_DEP_1) | instskip(SKIP_4) | instid1(VALU_DEP_4)
	v_add_nc_u32_e32 v1, 0x400, v109
	v_add_f64_e32 v[53:54], v[16:17], v[53:54]
	v_add_nc_u32_e32 v77, 0x800, v109
	v_add_nc_u32_e32 v78, 0x1000, v109
	;; [unrolled: 1-line block ×3, first 2 shown]
	v_add_f64_e32 v[53:54], v[8:9], v[53:54]
	s_delay_alu instid0(VALU_DEP_1)
	v_add_f64_e32 v[53:54], v[4:5], v[53:54]
	ds_store_2addr_b64 v0, v[84:85], v[88:89] offset0:4 offset1:5
	ds_store_2addr_b64 v0, v[86:87], v[55:56] offset0:6 offset1:7
	;; [unrolled: 1-line block ×4, first 2 shown]
	ds_store_b64 v0, v[82:83] offset:96
	ds_store_2addr_b64 v0, v[53:54], v[67:68] offset1:1
	ds_store_2addr_b64 v0, v[63:64], v[69:70] offset0:2 offset1:3
	global_wb scope:SCOPE_SE
	s_wait_dscnt 0x0
	s_barrier_signal -1
	s_barrier_wait -1
	global_inv scope:SCOPE_SE
	ds_load_b64 v[84:85], v110
	ds_load_2addr_b64 v[64:67], v1 offset0:93 offset1:161
	ds_load_2addr_b64 v[52:55], v77 offset0:101 offset1:186
	;; [unrolled: 1-line block ×3, first 2 shown]
	ds_load_b64 v[86:87], v75
	ds_load_b64 v[88:89], v74
	ds_load_b64 v[90:91], v109 offset:6392
	ds_load_2addr_b64 v[56:59], v76 offset0:126 offset1:194
                                        ; implicit-def: $vgpr60_vgpr61
	s_and_saveexec_b32 s1, s0
	s_cbranch_execz .LBB0_14
; %bb.13:
	v_add_nc_u32_e32 v60, 0xd00, v109
	v_add3_u32 v80, 0, v79, v111
	ds_load_2addr_b64 v[60:63], v60 offset0:9 offset1:230
	ds_load_b64 v[82:83], v80
	ds_load_b64 v[92:93], v109 offset:6936
.LBB0_14:
	s_wait_alu 0xfffe
	s_or_b32 exec_lo, exec_lo, s1
	v_add_f64_e32 v[94:95], v[34:35], v[2:3]
	v_add_f64_e64 v[4:5], v[32:33], -v[4:5]
	v_add_f64_e64 v[8:9], v[44:45], -v[8:9]
	v_add_f64_e32 v[34:35], v[34:35], v[6:7]
	v_add_f64_e64 v[16:17], v[40:41], -v[16:17]
	v_add_f64_e32 v[40:41], v[46:47], v[10:11]
	v_add_f64_e64 v[28:29], v[36:37], -v[28:29]
	v_add_f64_e64 v[12:13], v[12:13], -v[48:49]
	;; [unrolled: 1-line block ×3, first 2 shown]
	global_wb scope:SCOPE_SE
	s_wait_dscnt 0x0
	s_barrier_signal -1
	s_barrier_wait -1
	global_inv scope:SCOPE_SE
	v_add_f64_e32 v[94:95], v[46:47], v[94:95]
	v_mul_f64_e32 v[44:45], s[44:45], v[4:5]
	v_mul_f64_e32 v[96:97], s[20:21], v[4:5]
	;; [unrolled: 1-line block ×18, first 2 shown]
	v_add_f64_e32 v[94:95], v[42:43], v[94:95]
	v_fma_f64 v[114:115], v[34:35], s[14:15], -v[44:45]
	v_fma_f64 v[44:45], v[34:35], s[14:15], v[44:45]
	v_fma_f64 v[118:119], v[34:35], s[12:13], -v[96:97]
	v_fma_f64 v[120:121], v[34:35], s[16:17], -v[98:99]
	v_fma_f64 v[96:97], v[34:35], s[12:13], v[96:97]
	v_fma_f64 v[122:123], v[34:35], s[18:19], -v[100:101]
	v_fma_f64 v[100:101], v[34:35], s[18:19], v[100:101]
	v_fma_f64 v[98:99], v[34:35], s[16:17], v[98:99]
	v_fma_f64 v[132:133], v[40:41], s[6:7], -v[46:47]
	v_fma_f64 v[46:47], v[40:41], s[6:7], v[46:47]
	v_fma_f64 v[134:135], v[40:41], s[12:13], -v[102:103]
	;; [unrolled: 2-line block ×6, first 2 shown]
	v_fma_f64 v[8:9], v[40:41], s[14:15], v[8:9]
	v_add_f64_e32 v[32:33], v[38:39], v[94:95]
	v_mul_f64_e32 v[94:95], s[30:31], v[4:5]
	v_mul_f64_e32 v[4:5], s[36:37], v[4:5]
	v_add_f64_e32 v[40:41], v[114:115], v[2:3]
	v_add_f64_e32 v[44:45], v[44:45], v[2:3]
	;; [unrolled: 1-line block ×6, first 2 shown]
	v_fma_f64 v[116:117], v[34:35], s[6:7], v[94:95]
	v_fma_f64 v[124:125], v[34:35], s[2:3], v[4:5]
	v_fma_f64 v[94:95], v[34:35], s[6:7], -v[94:95]
	v_fma_f64 v[4:5], v[34:35], s[2:3], -v[4:5]
	v_add_f64_e32 v[34:35], v[18:19], v[42:43]
	v_mul_f64_e32 v[42:43], s[26:27], v[16:17]
	v_mul_f64_e32 v[16:17], s[24:25], v[16:17]
	v_add_f64_e32 v[96:97], v[106:107], v[96:97]
	v_add_f64_e32 v[8:9], v[8:9], v[100:101]
	;; [unrolled: 1-line block ×4, first 2 shown]
	v_mul_f64_e32 v[112:113], s[38:39], v[12:13]
	v_add_f64_e32 v[32:33], v[22:23], v[32:33]
	v_add_f64_e32 v[114:115], v[116:117], v[2:3]
	;; [unrolled: 1-line block ×9, first 2 shown]
	v_mul_f64_e32 v[38:39], s[20:21], v[28:29]
	v_mul_f64_e32 v[124:125], s[28:29], v[28:29]
	;; [unrolled: 1-line block ×3, first 2 shown]
	v_fma_f64 v[149:150], v[34:35], s[2:3], -v[36:37]
	v_fma_f64 v[36:37], v[34:35], s[2:3], v[36:37]
	v_fma_f64 v[151:152], v[34:35], s[18:19], -v[42:43]
	v_fma_f64 v[42:43], v[34:35], s[18:19], v[42:43]
	;; [unrolled: 2-line block ×6, first 2 shown]
	v_add_f64_e32 v[34:35], v[132:133], v[40:41]
	v_add_f64_e32 v[40:41], v[46:47], v[44:45]
	v_add_f64_e32 v[22:23], v[22:23], v[26:27]
	v_add_f64_e32 v[32:33], v[26:27], v[32:33]
	v_add_f64_e32 v[44:45], v[102:103], v[114:115]
	v_add_f64_e32 v[46:47], v[138:139], v[116:117]
	v_add_f64_e32 v[102:103], v[140:141], v[118:119]
	v_add_f64_e32 v[106:107], v[142:143], v[120:121]
	v_add_f64_e32 v[100:101], v[104:105], v[122:123]
	v_add_f64_e32 v[94:95], v[134:135], v[94:95]
	v_add_f64_e32 v[2:3], v[136:137], v[2:3]
	v_mul_f64_e32 v[104:105], s[30:31], v[12:13]
	v_mul_f64_e32 v[114:115], s[28:29], v[12:13]
	v_fma_f64 v[116:117], v[4:5], s[12:13], -v[38:39]
	v_fma_f64 v[38:39], v[4:5], s[12:13], v[38:39]
	v_fma_f64 v[118:119], v[4:5], s[16:17], -v[48:49]
	v_fma_f64 v[48:49], v[4:5], s[16:17], v[48:49]
	;; [unrolled: 2-line block ×6, first 2 shown]
	v_mul_f64_e32 v[26:27], s[26:27], v[20:21]
	v_add_f64_e32 v[8:9], v[16:17], v[8:9]
	v_add_f64_e32 v[28:29], v[149:150], v[34:35]
	;; [unrolled: 1-line block ×4, first 2 shown]
	v_mul_f64_e32 v[98:99], s[24:25], v[20:21]
	v_fma_f64 v[130:131], v[14:15], s[18:19], -v[112:113]
	v_fma_f64 v[112:113], v[14:15], s[18:19], v[112:113]
	v_add_f64_e32 v[32:33], v[50:51], v[32:33]
	v_mul_f64_e32 v[50:51], s[22:23], v[12:13]
	v_mul_f64_e32 v[12:13], s[20:21], v[12:13]
	v_add_f64_e32 v[36:37], v[42:43], v[44:45]
	v_add_f64_e32 v[40:41], v[155:156], v[46:47]
	;; [unrolled: 1-line block ×8, first 2 shown]
	v_mul_f64_e32 v[100:101], s[34:35], v[20:21]
	v_mul_f64_e32 v[102:103], s[20:21], v[20:21]
	v_fma_f64 v[106:107], v[14:15], s[16:17], -v[24:25]
	v_fma_f64 v[24:25], v[14:15], s[16:17], v[24:25]
	v_fma_f64 v[128:129], v[14:15], s[6:7], -v[104:105]
	v_fma_f64 v[104:105], v[14:15], s[6:7], v[104:105]
	v_fma_f64 v[140:141], v[14:15], s[14:15], -v[114:115]
	v_fma_f64 v[114:115], v[14:15], s[14:15], v[114:115]
	v_add_f64_e32 v[4:5], v[4:5], v[8:9]
	v_add_f64_e32 v[8:9], v[136:137], v[16:17]
	;; [unrolled: 1-line block ×3, first 2 shown]
	v_mul_f64_e32 v[32:33], s[28:29], v[20:21]
	v_mul_f64_e32 v[20:21], s[22:23], v[20:21]
	v_fma_f64 v[126:127], v[14:15], s[2:3], -v[50:51]
	v_fma_f64 v[50:51], v[14:15], s[2:3], v[50:51]
	v_fma_f64 v[142:143], v[14:15], s[12:13], -v[12:13]
	v_fma_f64 v[12:13], v[14:15], s[12:13], v[12:13]
	v_add_f64_e32 v[14:15], v[116:117], v[28:29]
	v_add_f64_e32 v[28:29], v[38:39], v[34:35]
	;; [unrolled: 1-line block ×10, first 2 shown]
	v_fma_f64 v[48:49], v[22:23], s[16:17], -v[98:99]
	v_fma_f64 v[96:97], v[22:23], s[16:17], v[98:99]
	v_fma_f64 v[98:99], v[22:23], s[6:7], -v[100:101]
	v_fma_f64 v[100:101], v[22:23], s[6:7], v[100:101]
	;; [unrolled: 2-line block ×3, first 2 shown]
	v_add_f64_e32 v[8:9], v[114:115], v[8:9]
	v_add_f64_e32 v[18:19], v[18:19], v[30:31]
	v_fma_f64 v[30:31], v[22:23], s[18:19], -v[26:27]
	v_fma_f64 v[26:27], v[22:23], s[18:19], v[26:27]
	v_fma_f64 v[46:47], v[22:23], s[14:15], -v[32:33]
	v_fma_f64 v[32:33], v[22:23], s[14:15], v[32:33]
	;; [unrolled: 2-line block ×3, first 2 shown]
	v_add_f64_e32 v[4:5], v[12:13], v[4:5]
	v_add_f64_e32 v[22:23], v[24:25], v[28:29]
	;; [unrolled: 1-line block ×11, first 2 shown]
                                        ; implicit-def: $vgpr40_vgpr41
	v_add_f64_e32 v[8:9], v[102:103], v[8:9]
	v_add_f64_e32 v[10:11], v[10:11], v[18:19]
	;; [unrolled: 1-line block ×14, first 2 shown]
	ds_store_2addr_b64 v0, v[22:23], v[26:27] offset0:4 offset1:5
	ds_store_2addr_b64 v0, v[28:29], v[4:5] offset0:6 offset1:7
	;; [unrolled: 1-line block ×4, first 2 shown]
	ds_store_b64 v0, v[94:95] offset:96
	ds_store_2addr_b64 v0, v[6:7], v[14:15] offset1:1
	ds_store_2addr_b64 v0, v[16:17], v[2:3] offset0:2 offset1:3
	global_wb scope:SCOPE_SE
	s_wait_dscnt 0x0
	s_barrier_signal -1
	s_barrier_wait -1
	global_inv scope:SCOPE_SE
	ds_load_b64 v[96:97], v110
	ds_load_2addr_b64 v[0:3], v1 offset0:93 offset1:161
	ds_load_2addr_b64 v[6:9], v77 offset0:101 offset1:186
	;; [unrolled: 1-line block ×4, first 2 shown]
	ds_load_b64 v[98:99], v75
	ds_load_b64 v[100:101], v74
	ds_load_b64 v[4:5], v109 offset:6392
                                        ; implicit-def: $vgpr14_vgpr15
	s_and_saveexec_b32 s1, s0
	s_cbranch_execz .LBB0_16
; %bb.15:
	v_add_nc_u32_e32 v14, 0xd00, v109
	v_add3_u32 v15, 0, v79, v111
	ds_load_2addr_b64 v[40:43], v14 offset0:9 offset1:230
	ds_load_b64 v[94:95], v15
	ds_load_b64 v[14:15], v109 offset:6936
.LBB0_16:
	s_wait_alu 0xfffe
	s_or_b32 exec_lo, exec_lo, s1
	v_and_b32_e32 v16, 0xff, v146
	v_and_b32_e32 v17, 0xff, v72
	;; [unrolled: 1-line block ×4, first 2 shown]
	s_delay_alu instid0(VALU_DEP_4) | instskip(NEXT) | instid1(VALU_DEP_4)
	v_mul_lo_u16 v16, 0x4f, v16
	v_mul_lo_u16 v17, 0x4f, v17
	s_delay_alu instid0(VALU_DEP_4) | instskip(NEXT) | instid1(VALU_DEP_3)
	v_mul_lo_u16 v18, 0x4f, v18
	v_lshrrev_b16 v80, 10, v16
	v_mul_u32_u24_e32 v16, 0x4ec5, v19
	s_delay_alu instid0(VALU_DEP_4) | instskip(NEXT) | instid1(VALU_DEP_4)
	v_lshrrev_b16 v81, 10, v17
	v_lshrrev_b16 v144, 10, v18
	s_delay_alu instid0(VALU_DEP_4) | instskip(NEXT) | instid1(VALU_DEP_4)
	v_mul_lo_u16 v17, v80, 13
	v_lshrrev_b32_e32 v16, 18, v16
	s_delay_alu instid0(VALU_DEP_4) | instskip(NEXT) | instid1(VALU_DEP_4)
	v_mul_lo_u16 v18, v81, 13
	v_mul_lo_u16 v19, v144, 13
	s_delay_alu instid0(VALU_DEP_4) | instskip(NEXT) | instid1(VALU_DEP_4)
	v_sub_nc_u16 v17, v146, v17
	v_mul_lo_u16 v16, v16, 13
	s_delay_alu instid0(VALU_DEP_4) | instskip(NEXT) | instid1(VALU_DEP_4)
	v_sub_nc_u16 v18, v72, v18
	v_sub_nc_u16 v19, v73, v19
	s_delay_alu instid0(VALU_DEP_4) | instskip(NEXT) | instid1(VALU_DEP_4)
	v_and_b32_e32 v145, 0xff, v17
	v_sub_nc_u16 v16, v108, v16
	s_delay_alu instid0(VALU_DEP_4) | instskip(NEXT) | instid1(VALU_DEP_4)
	v_and_b32_e32 v147, 0xff, v18
	v_and_b32_e32 v148, 0xff, v19
	s_delay_alu instid0(VALU_DEP_4) | instskip(NEXT) | instid1(VALU_DEP_4)
	v_mul_u32_u24_e32 v17, 3, v145
	v_and_b32_e32 v149, 0xffff, v16
	s_delay_alu instid0(VALU_DEP_4) | instskip(NEXT) | instid1(VALU_DEP_4)
	v_mul_u32_u24_e32 v16, 3, v147
	v_mul_u32_u24_e32 v18, 3, v148
	s_delay_alu instid0(VALU_DEP_4) | instskip(NEXT) | instid1(VALU_DEP_4)
	v_lshlrev_b32_e32 v20, 4, v17
	v_mul_u32_u24_e32 v21, 3, v149
	s_delay_alu instid0(VALU_DEP_4) | instskip(NEXT) | instid1(VALU_DEP_4)
	v_lshlrev_b32_e32 v28, 4, v16
	v_lshlrev_b32_e32 v76, 4, v18
	s_clause 0x1
	global_load_b128 v[44:47], v20, s[4:5] offset:16
	global_load_b128 v[16:19], v20, s[4:5]
	v_lshlrev_b32_e32 v106, 4, v21
	s_clause 0x9
	global_load_b128 v[20:23], v20, s[4:5] offset:32
	global_load_b128 v[24:27], v28, s[4:5]
	global_load_b128 v[48:51], v28, s[4:5] offset:16
	global_load_b128 v[28:31], v28, s[4:5] offset:32
	global_load_b128 v[32:35], v76, s[4:5]
	global_load_b128 v[72:75], v76, s[4:5] offset:16
	;; [unrolled: 3-line block ×3, first 2 shown]
	global_load_b128 v[116:119], v106, s[4:5] offset:32
	global_wb scope:SCOPE_SE
	s_wait_loadcnt_dscnt 0x0
	s_barrier_signal -1
	s_barrier_wait -1
	global_inv scope:SCOPE_SE
	v_mul_f64_e32 v[122:123], v[10:11], v[22:23]
	v_mul_f64_e32 v[124:125], v[2:3], v[26:27]
	;; [unrolled: 1-line block ×20, first 2 shown]
	v_fma_f64 v[68:69], v[68:69], v[20:21], v[122:123]
	v_fma_f64 v[70:71], v[70:71], v[28:29], v[128:129]
	;; [unrolled: 1-line block ×12, first 2 shown]
	v_fma_f64 v[52:53], v[0:1], v[16:17], -v[18:19]
	v_fma_f64 v[0:1], v[10:11], v[20:21], -v[22:23]
	;; [unrolled: 1-line block ×8, first 2 shown]
	v_add_f64_e64 v[40:41], v[142:143], -v[68:69]
	v_add_f64_e64 v[12:13], v[84:85], -v[106:107]
	v_and_b32_e32 v68, 0xffff, v144
	v_add_f64_e64 v[18:19], v[88:89], -v[66:67]
	v_add_f64_e64 v[66:67], v[120:121], -v[70:71]
	;; [unrolled: 1-line block ×6, first 2 shown]
	v_mad_u32_u24 v68, 0x1a0, v68, 0
	v_add_f64_e64 v[104:105], v[52:53], -v[0:1]
	v_lshlrev_b32_e32 v69, 3, v145
	v_add_f64_e64 v[106:107], v[64:65], -v[2:3]
	v_add_f64_e64 v[102:103], v[60:61], -v[4:5]
	;; [unrolled: 1-line block ×3, first 2 shown]
	v_fma_f64 v[0:1], v[142:143], 2.0, -v[40:41]
	v_fma_f64 v[2:3], v[84:85], 2.0, -v[12:13]
	v_fma_f64 v[4:5], v[88:89], 2.0, -v[18:19]
	v_fma_f64 v[6:7], v[120:121], 2.0, -v[66:67]
	v_fma_f64 v[84:85], v[86:87], 2.0, -v[26:27]
	v_fma_f64 v[14:15], v[122:123], 2.0, -v[70:71]
	v_fma_f64 v[82:83], v[82:83], 2.0, -v[112:113]
	v_fma_f64 v[20:21], v[126:127], 2.0, -v[90:91]
	v_add_f64_e32 v[28:29], v[12:13], v[104:105]
	v_add_f64_e32 v[16:17], v[18:19], v[106:107]
	;; [unrolled: 1-line block ×3, first 2 shown]
	v_add_f64_e64 v[34:35], v[2:3], -v[0:1]
	v_add_f64_e32 v[0:1], v[26:27], v[102:103]
	v_add_f64_e64 v[22:23], v[4:5], -v[6:7]
	v_add_f64_e64 v[6:7], v[84:85], -v[14:15]
	;; [unrolled: 1-line block ×3, first 2 shown]
	v_fma_f64 v[32:33], v[12:13], 2.0, -v[28:29]
	v_fma_f64 v[20:21], v[18:19], 2.0, -v[16:17]
	;; [unrolled: 1-line block ×7, first 2 shown]
	v_and_b32_e32 v26, 0xffff, v80
	v_fma_f64 v[2:3], v[82:83], 2.0, -v[14:15]
	v_and_b32_e32 v27, 0xffff, v81
	v_lshlrev_b32_e32 v80, 3, v147
	v_lshlrev_b32_e32 v81, 3, v148
	v_mad_u32_u24 v26, 0x1a0, v26, 0
	v_and_b32_e32 v83, 0xff, v108
	v_mad_u32_u24 v27, 0x1a0, v27, 0
	v_lshlrev_b32_e32 v82, 3, v149
	v_add3_u32 v84, v68, v81, v111
	v_add3_u32 v86, v26, v69, v111
	s_delay_alu instid0(VALU_DEP_4)
	v_add3_u32 v85, v27, v80, v111
	ds_store_2addr_b64 v86, v[34:35], v[28:29] offset0:26 offset1:39
	ds_store_2addr_b64 v86, v[199:200], v[32:33] offset1:13
	ds_store_2addr_b64 v85, v[30:31], v[20:21] offset1:13
	ds_store_2addr_b64 v85, v[22:23], v[16:17] offset0:26 offset1:39
	ds_store_2addr_b64 v84, v[18:19], v[4:5] offset1:13
	ds_store_2addr_b64 v84, v[6:7], v[0:1] offset0:26 offset1:39
	s_and_saveexec_b32 s1, s0
	s_cbranch_execz .LBB0_18
; %bb.17:
	v_mul_lo_u16 v26, 0x4f, v83
	s_delay_alu instid0(VALU_DEP_1) | instskip(NEXT) | instid1(VALU_DEP_1)
	v_lshrrev_b16 v26, 10, v26
	v_and_b32_e32 v26, 0xffff, v26
	s_delay_alu instid0(VALU_DEP_1) | instskip(NEXT) | instid1(VALU_DEP_1)
	v_mad_u32_u24 v26, 0x1a0, v26, 0
	v_add3_u32 v26, v26, v82, v111
	ds_store_2addr_b64 v26, v[2:3], v[12:13] offset1:13
	ds_store_2addr_b64 v26, v[14:15], v[24:25] offset0:26 offset1:39
.LBB0_18:
	s_wait_alu 0xfffe
	s_or_b32 exec_lo, exec_lo, s1
	v_cmp_gt_u32_e64 s1, 52, v146
	global_wb scope:SCOPE_SE
	s_wait_dscnt 0x0
	s_barrier_signal -1
	s_barrier_wait -1
	global_inv scope:SCOPE_SE
	s_and_saveexec_b32 s2, s1
	s_cbranch_execz .LBB0_20
; %bb.19:
	v_add_nc_u32_e32 v0, 0x800, v109
	v_add_nc_u32_e32 v1, 0xc00, v109
	;; [unrolled: 1-line block ×4, first 2 shown]
	ds_load_b64 v[199:200], v110
	ds_load_2addr_b64 v[32:35], v109 offset0:52 offset1:104
	ds_load_2addr_b64 v[28:31], v109 offset0:156 offset1:208
	;; [unrolled: 1-line block ×8, first 2 shown]
.LBB0_20:
	s_wait_alu 0xfffe
	s_or_b32 exec_lo, exec_lo, s2
	v_mul_f64_e32 v[46:47], v[54:55], v[46:47]
	v_mul_f64_e32 v[50:51], v[56:57], v[50:51]
	;; [unrolled: 1-line block ×4, first 2 shown]
	v_fma_f64 v[10:11], v[10:11], 2.0, -v[92:93]
	global_wb scope:SCOPE_SE
	s_wait_dscnt 0x0
	s_barrier_signal -1
	s_barrier_wait -1
	global_inv scope:SCOPE_SE
	v_fma_f64 v[8:9], v[8:9], v[44:45], -v[46:47]
	v_fma_f64 v[36:37], v[36:37], v[48:49], -v[50:51]
	;; [unrolled: 1-line block ×4, first 2 shown]
	s_delay_alu instid0(VALU_DEP_4) | instskip(NEXT) | instid1(VALU_DEP_4)
	v_add_f64_e64 v[46:47], v[96:97], -v[8:9]
	v_add_f64_e64 v[36:37], v[100:101], -v[36:37]
	s_delay_alu instid0(VALU_DEP_4) | instskip(NEXT) | instid1(VALU_DEP_4)
	v_add_f64_e64 v[50:51], v[98:99], -v[38:39]
	v_add_f64_e64 v[62:63], v[94:95], -v[42:43]
	v_fma_f64 v[8:9], v[52:53], 2.0, -v[104:105]
	v_fma_f64 v[38:39], v[64:65], 2.0, -v[106:107]
	;; [unrolled: 1-line block ×7, first 2 shown]
	v_add_f64_e64 v[56:57], v[46:47], -v[40:41]
	v_add_f64_e64 v[44:45], v[36:37], -v[66:67]
	;; [unrolled: 1-line block ×8, first 2 shown]
	v_fma_f64 v[64:65], v[46:47], 2.0, -v[56:57]
	v_fma_f64 v[52:53], v[36:37], 2.0, -v[44:45]
	v_fma_f64 v[40:41], v[62:63], 2.0, -v[48:49]
	v_fma_f64 v[70:71], v[58:59], 2.0, -v[66:67]
	v_fma_f64 v[58:59], v[72:73], 2.0, -v[54:55]
	v_fma_f64 v[36:37], v[50:51], 2.0, -v[8:9]
	v_fma_f64 v[46:47], v[60:61], 2.0, -v[38:39]
	v_fma_f64 v[10:11], v[74:75], 2.0, -v[42:43]
	ds_store_2addr_b64 v86, v[66:67], v[56:57] offset0:26 offset1:39
	ds_store_2addr_b64 v86, v[70:71], v[64:65] offset1:13
	ds_store_2addr_b64 v85, v[58:59], v[52:53] offset1:13
	ds_store_2addr_b64 v85, v[54:55], v[44:45] offset0:26 offset1:39
	ds_store_2addr_b64 v84, v[46:47], v[36:37] offset1:13
	ds_store_2addr_b64 v84, v[38:39], v[8:9] offset0:26 offset1:39
	s_and_saveexec_b32 s2, s0
	s_cbranch_execz .LBB0_22
; %bb.21:
	v_mul_lo_u16 v50, 0x4f, v83
	s_delay_alu instid0(VALU_DEP_1) | instskip(NEXT) | instid1(VALU_DEP_1)
	v_lshrrev_b16 v50, 10, v50
	v_and_b32_e32 v50, 0xffff, v50
	s_delay_alu instid0(VALU_DEP_1) | instskip(NEXT) | instid1(VALU_DEP_1)
	v_mad_u32_u24 v50, 0x1a0, v50, 0
	v_add3_u32 v50, v50, v82, v111
	ds_store_2addr_b64 v50, v[10:11], v[40:41] offset1:13
	ds_store_2addr_b64 v50, v[42:43], v[48:49] offset0:26 offset1:39
.LBB0_22:
	s_wait_alu 0xfffe
	s_or_b32 exec_lo, exec_lo, s2
	global_wb scope:SCOPE_SE
	s_wait_dscnt 0x0
	s_barrier_signal -1
	s_barrier_wait -1
	global_inv scope:SCOPE_SE
	s_and_saveexec_b32 s0, s1
	s_cbranch_execnz .LBB0_25
; %bb.23:
	s_wait_alu 0xfffe
	s_or_b32 exec_lo, exec_lo, s0
	s_and_b32 s0, vcc_lo, s1
	s_wait_alu 0xfffe
	s_and_saveexec_b32 s1, s0
	s_cbranch_execnz .LBB0_26
.LBB0_24:
	s_endpgm
.LBB0_25:
	v_add_nc_u32_e32 v8, 0x800, v109
	v_add_nc_u32_e32 v9, 0xc00, v109
	;; [unrolled: 1-line block ×4, first 2 shown]
	ds_load_b64 v[70:71], v110
	ds_load_2addr_b64 v[64:67], v109 offset0:52 offset1:104
	ds_load_2addr_b64 v[56:59], v109 offset0:156 offset1:208
	;; [unrolled: 1-line block ×8, first 2 shown]
	s_wait_alu 0xfffe
	s_or_b32 exec_lo, exec_lo, s0
	s_and_b32 s0, vcc_lo, s1
	s_wait_alu 0xfffe
	s_and_saveexec_b32 s1, s0
	s_cbranch_execz .LBB0_24
.LBB0_26:
	v_dual_mov_b32 v61, 0 :: v_dual_lshlrev_b32 v60, 4, v146
	s_mov_b32 s24, 0x5d8e7cdc
	s_mov_b32 s25, 0x3fd71e95
	s_mov_b32 s31, 0xbfd71e95
	s_wait_alu 0xfffe
	s_mov_b32 s30, s24
	v_lshlrev_b64_e32 v[60:61], 4, v[60:61]
	s_mov_b32 s18, 0x2a9d6da3
	s_mov_b32 s0, 0x370991
	;; [unrolled: 1-line block ×5, first 2 shown]
	v_add_co_u32 v74, vcc_lo, s4, v60
	s_wait_alu 0xfffd
	v_add_co_ci_u32_e32 v75, vcc_lo, s5, v61, vcc_lo
	v_add_co_u32 v147, vcc_lo, s10, v161
	s_clause 0x1
	global_load_b128 v[76:79], v[74:75], off offset:624
	global_load_b128 v[60:63], v[74:75], off offset:640
	s_wait_alu 0xfffd
	v_add_co_ci_u32_e32 v148, vcc_lo, s11, v162, vcc_lo
	s_wait_alu 0xfffe
	s_mov_b32 s40, s18
	s_mov_b32 s2, 0x75d4884
	s_mov_b32 s3, 0x3fe7a5f6
	s_mov_b32 s22, 0x7c9e640b
	s_mov_b32 s23, 0x3feca52d
	s_mov_b32 s43, 0xbfeca52d
	s_wait_alu 0xfffe
	s_mov_b32 s42, s22
	s_mov_b32 s4, 0x2b2883cd
	s_mov_b32 s5, 0x3fdc86fa
	s_mov_b32 s20, 0xeb564b22
	s_mov_b32 s21, 0x3fefdd0d
	s_mov_b32 s39, 0xbfefdd0d
	;; [unrolled: 7-line block ×3, first 2 shown]
	s_mov_b32 s17, 0xbfd183b1
	s_mov_b32 s28, 0x6c9a05f6
	;; [unrolled: 1-line block ×14, first 2 shown]
	s_wait_alu 0xfffe
	s_mov_b32 s46, s34
	s_mov_b32 s45, 0x3feec746
	;; [unrolled: 1-line block ×5, first 2 shown]
	s_wait_loadcnt 0x1
	v_mul_f64_e32 v[72:73], v[32:33], v[78:79]
	s_wait_dscnt 0x7
	s_delay_alu instid0(VALU_DEP_1) | instskip(SKIP_1) | instid1(VALU_DEP_1)
	v_fma_f64 v[72:73], v[64:65], v[76:77], -v[72:73]
	v_mul_f64_e32 v[64:65], v[64:65], v[78:79]
	v_fma_f64 v[32:33], v[32:33], v[76:77], v[64:65]
	s_clause 0x1
	global_load_b128 v[76:79], v[74:75], off offset:656
	global_load_b128 v[82:85], v[74:75], off offset:672
	s_wait_loadcnt 0x2
	v_mul_f64_e32 v[64:65], v[34:35], v[62:63]
	v_mul_f64_e32 v[62:63], v[66:67], v[62:63]
	s_delay_alu instid0(VALU_DEP_2) | instskip(NEXT) | instid1(VALU_DEP_2)
	v_fma_f64 v[64:65], v[66:67], v[60:61], -v[64:65]
	v_fma_f64 v[34:35], v[34:35], v[60:61], v[62:63]
	s_wait_loadcnt 0x1
	v_mul_f64_e32 v[60:61], v[28:29], v[78:79]
	s_wait_dscnt 0x6
	s_delay_alu instid0(VALU_DEP_1) | instskip(SKIP_1) | instid1(VALU_DEP_1)
	v_fma_f64 v[60:61], v[56:57], v[76:77], -v[60:61]
	v_mul_f64_e32 v[56:57], v[56:57], v[78:79]
	v_fma_f64 v[28:29], v[28:29], v[76:77], v[56:57]
	s_wait_loadcnt 0x0
	v_mul_f64_e32 v[56:57], v[30:31], v[84:85]
	s_delay_alu instid0(VALU_DEP_1) | instskip(SKIP_1) | instid1(VALU_DEP_1)
	v_fma_f64 v[56:57], v[58:59], v[82:83], -v[56:57]
	v_mul_f64_e32 v[58:59], v[58:59], v[84:85]
	v_fma_f64 v[30:31], v[30:31], v[82:83], v[58:59]
	s_clause 0x1
	global_load_b128 v[76:79], v[74:75], off offset:688
	global_load_b128 v[82:85], v[74:75], off offset:704
	s_wait_loadcnt 0x1
	v_mul_f64_e32 v[58:59], v[20:21], v[78:79]
	s_wait_dscnt 0x5
	s_delay_alu instid0(VALU_DEP_1) | instskip(SKIP_1) | instid1(VALU_DEP_1)
	v_fma_f64 v[58:59], v[52:53], v[76:77], -v[58:59]
	v_mul_f64_e32 v[52:53], v[52:53], v[78:79]
	v_fma_f64 v[20:21], v[20:21], v[76:77], v[52:53]
	s_wait_loadcnt 0x0
	v_mul_f64_e32 v[52:53], v[22:23], v[84:85]
	s_delay_alu instid0(VALU_DEP_1) | instskip(SKIP_1) | instid1(VALU_DEP_1)
	v_fma_f64 v[52:53], v[54:55], v[82:83], -v[52:53]
	v_mul_f64_e32 v[54:55], v[54:55], v[84:85]
	v_fma_f64 v[22:23], v[22:23], v[82:83], v[54:55]
	s_clause 0x1
	global_load_b128 v[76:79], v[74:75], off offset:864
	global_load_b128 v[82:85], v[74:75], off offset:848
	s_wait_loadcnt_dscnt 0x100
	v_mul_f64_e32 v[54:55], v[50:51], v[78:79]
	s_delay_alu instid0(VALU_DEP_1) | instskip(SKIP_1) | instid1(VALU_DEP_2)
	v_fma_f64 v[54:55], v[26:27], v[76:77], v[54:55]
	v_mul_f64_e32 v[26:27], v[26:27], v[78:79]
	v_add_f64_e64 v[155:156], v[32:33], -v[54:55]
	s_delay_alu instid0(VALU_DEP_2) | instskip(SKIP_2) | instid1(VALU_DEP_3)
	v_fma_f64 v[50:51], v[50:51], v[76:77], -v[26:27]
	s_wait_loadcnt 0x0
	v_mul_f64_e32 v[26:27], v[48:49], v[84:85]
	v_mul_f64_e32 v[96:97], s[40:41], v[155:156]
	s_delay_alu instid0(VALU_DEP_3) | instskip(NEXT) | instid1(VALU_DEP_3)
	v_add_f64_e64 v[153:154], v[72:73], -v[50:51]
	v_fma_f64 v[26:27], v[24:25], v[82:83], v[26:27]
	v_mul_f64_e32 v[24:25], v[24:25], v[84:85]
	v_mul_f64_e32 v[185:186], s[38:39], v[155:156]
	s_delay_alu instid0(VALU_DEP_4) | instskip(NEXT) | instid1(VALU_DEP_4)
	v_mul_f64_e32 v[94:95], s[40:41], v[153:154]
	v_add_f64_e64 v[159:160], v[34:35], -v[26:27]
	s_delay_alu instid0(VALU_DEP_4)
	v_fma_f64 v[48:49], v[48:49], v[82:83], -v[24:25]
	s_clause 0x1
	global_load_b128 v[76:79], v[74:75], off offset:720
	global_load_b128 v[82:85], v[74:75], off offset:736
	v_mul_f64_e32 v[189:190], s[38:39], v[153:154]
	v_mul_f64_e32 v[207:208], s[26:27], v[153:154]
	;; [unrolled: 1-line block ×5, first 2 shown]
	v_add_f64_e64 v[157:158], v[64:65], -v[48:49]
	v_mul_f64_e32 v[187:188], s[36:37], v[159:160]
	s_delay_alu instid0(VALU_DEP_2)
	v_mul_f64_e32 v[100:101], s[38:39], v[157:158]
	v_mul_f64_e32 v[191:192], s[36:37], v[157:158]
	;; [unrolled: 1-line block ×3, first 2 shown]
	s_wait_alu 0xfffe
	v_mul_f64_e32 v[241:242], s[44:45], v[157:158]
	v_mul_f64_e32 v[114:115], s[22:23], v[157:158]
	s_wait_loadcnt 0x1
	v_mul_f64_e32 v[24:25], v[16:17], v[78:79]
	s_delay_alu instid0(VALU_DEP_1) | instskip(SKIP_1) | instid1(VALU_DEP_1)
	v_fma_f64 v[24:25], v[44:45], v[76:77], -v[24:25]
	v_mul_f64_e32 v[44:45], v[44:45], v[78:79]
	v_fma_f64 v[16:17], v[16:17], v[76:77], v[44:45]
	s_wait_loadcnt 0x0
	v_mul_f64_e32 v[44:45], v[18:19], v[84:85]
	s_delay_alu instid0(VALU_DEP_1) | instskip(SKIP_1) | instid1(VALU_DEP_1)
	v_fma_f64 v[44:45], v[46:47], v[82:83], -v[44:45]
	v_mul_f64_e32 v[46:47], v[46:47], v[84:85]
	v_fma_f64 v[18:19], v[18:19], v[82:83], v[46:47]
	s_clause 0x1
	global_load_b128 v[76:79], v[74:75], off offset:832
	global_load_b128 v[82:85], v[74:75], off offset:816
	s_wait_loadcnt 0x1
	v_mul_f64_e32 v[46:47], v[42:43], v[78:79]
	s_delay_alu instid0(VALU_DEP_1) | instskip(SKIP_1) | instid1(VALU_DEP_2)
	v_fma_f64 v[46:47], v[14:15], v[76:77], v[46:47]
	v_mul_f64_e32 v[14:15], v[14:15], v[78:79]
	v_add_f64_e64 v[163:164], v[28:29], -v[46:47]
	s_delay_alu instid0(VALU_DEP_2) | instskip(SKIP_2) | instid1(VALU_DEP_3)
	v_fma_f64 v[14:15], v[42:43], v[76:77], -v[14:15]
	s_wait_loadcnt 0x0
	v_mul_f64_e32 v[42:43], v[40:41], v[84:85]
	v_mul_f64_e32 v[108:109], s[28:29], v[163:164]
	s_delay_alu instid0(VALU_DEP_3) | instskip(NEXT) | instid1(VALU_DEP_3)
	v_add_f64_e64 v[161:162], v[60:61], -v[14:15]
	v_fma_f64 v[42:43], v[12:13], v[82:83], v[42:43]
	v_mul_f64_e32 v[12:13], v[12:13], v[84:85]
	v_mul_f64_e32 v[193:194], s[44:45], v[163:164]
	;; [unrolled: 1-line block ×4, first 2 shown]
	v_add_f64_e64 v[167:168], v[30:31], -v[42:43]
	v_fma_f64 v[12:13], v[40:41], v[82:83], -v[12:13]
	s_clause 0x1
	global_load_b128 v[76:79], v[74:75], off offset:752
	global_load_b128 v[82:85], v[74:75], off offset:768
	v_mul_f64_e32 v[195:196], s[44:45], v[161:162]
	v_mul_f64_e32 v[118:119], s[38:39], v[161:162]
	;; [unrolled: 1-line block ×3, first 2 shown]
	v_add_f64_e64 v[165:166], v[56:57], -v[12:13]
	v_mul_f64_e32 v[197:198], s[24:25], v[167:168]
	s_wait_loadcnt 0x1
	v_mul_f64_e32 v[40:41], v[4:5], v[78:79]
	s_delay_alu instid0(VALU_DEP_1) | instskip(SKIP_1) | instid1(VALU_DEP_2)
	v_fma_f64 v[40:41], v[36:37], v[76:77], -v[40:41]
	v_mul_f64_e32 v[36:37], v[36:37], v[78:79]
	v_add_f64_e64 v[181:182], v[44:45], -v[40:41]
	s_delay_alu instid0(VALU_DEP_2) | instskip(SKIP_2) | instid1(VALU_DEP_3)
	v_fma_f64 v[4:5], v[4:5], v[76:77], v[36:37]
	s_wait_loadcnt 0x0
	v_mul_f64_e32 v[36:37], v[6:7], v[84:85]
	v_mul_f64_e32 v[235:236], s[28:29], v[181:182]
	s_delay_alu instid0(VALU_DEP_3) | instskip(NEXT) | instid1(VALU_DEP_3)
	v_add_f64_e64 v[183:184], v[18:19], -v[4:5]
	v_fma_f64 v[36:37], v[38:39], v[82:83], -v[36:37]
	v_mul_f64_e32 v[38:39], v[38:39], v[84:85]
	s_delay_alu instid0(VALU_DEP_3) | instskip(NEXT) | instid1(VALU_DEP_3)
	v_mul_f64_e32 v[233:234], s[28:29], v[183:184]
	v_add_f64_e64 v[177:178], v[24:25], -v[36:37]
	s_delay_alu instid0(VALU_DEP_3)
	v_fma_f64 v[6:7], v[6:7], v[82:83], v[38:39]
	s_clause 0x1
	global_load_b128 v[76:79], v[74:75], off offset:800
	global_load_b128 v[82:85], v[74:75], off offset:784
	v_mul_f64_e32 v[201:202], s[26:27], v[183:184]
	v_mul_f64_e32 v[144:145], s[18:19], v[177:178]
	v_add_f64_e64 v[179:180], v[16:17], -v[6:7]
	s_delay_alu instid0(VALU_DEP_1) | instskip(SKIP_2) | instid1(VALU_DEP_1)
	v_mul_f64_e32 v[142:143], s[18:19], v[179:180]
	s_wait_loadcnt 0x1
	v_mul_f64_e32 v[38:39], v[10:11], v[78:79]
	v_fma_f64 v[38:39], v[2:3], v[76:77], v[38:39]
	v_mul_f64_e32 v[2:3], v[2:3], v[78:79]
	s_delay_alu instid0(VALU_DEP_2) | instskip(NEXT) | instid1(VALU_DEP_2)
	v_add_f64_e64 v[171:172], v[20:21], -v[38:39]
	v_fma_f64 v[10:11], v[10:11], v[76:77], -v[2:3]
	s_wait_loadcnt 0x0
	v_mul_f64_e32 v[2:3], v[8:9], v[84:85]
	s_delay_alu instid0(VALU_DEP_3) | instskip(NEXT) | instid1(VALU_DEP_3)
	v_mul_f64_e32 v[76:77], s[18:19], v[171:172]
	v_add_f64_e64 v[169:170], v[58:59], -v[10:11]
	s_delay_alu instid0(VALU_DEP_3)
	v_fma_f64 v[62:63], v[0:1], v[82:83], v[2:3]
	v_mul_f64_e32 v[0:1], v[0:1], v[84:85]
	v_add_f64_e32 v[2:3], v[199:200], v[32:33]
	v_mul_f64_e32 v[84:85], s[36:37], v[165:166]
	v_mul_f64_e32 v[128:129], s[30:31], v[171:172]
	;; [unrolled: 1-line block ×3, first 2 shown]
	v_add_f64_e64 v[175:176], v[22:23], -v[62:63]
	v_fma_f64 v[8:9], v[8:9], v[82:83], -v[0:1]
	v_add_f64_e32 v[0:1], v[70:71], v[72:73]
	v_add_f64_e32 v[2:3], v[34:35], v[2:3]
	v_mul_f64_e32 v[132:133], s[30:31], v[169:170]
	v_add_nc_u32_e32 v82, 0x16c, v146
	v_mul_f64_e32 v[110:111], s[30:31], v[175:176]
	v_add_f64_e64 v[173:174], v[52:53], -v[8:9]
	v_add_f64_e32 v[0:1], v[64:65], v[0:1]
	v_add_f64_e32 v[2:3], v[28:29], v[2:3]
	v_mul_f64_e32 v[134:135], s[36:37], v[175:176]
	s_delay_alu instid0(VALU_DEP_4) | instskip(NEXT) | instid1(VALU_DEP_4)
	v_mul_f64_e32 v[140:141], s[36:37], v[173:174]
	v_add_f64_e32 v[0:1], v[60:61], v[0:1]
	s_delay_alu instid0(VALU_DEP_4) | instskip(SKIP_1) | instid1(VALU_DEP_3)
	v_add_f64_e32 v[2:3], v[30:31], v[2:3]
	v_add_f64_e32 v[60:61], v[60:61], v[14:15]
	;; [unrolled: 1-line block ×3, first 2 shown]
	s_delay_alu instid0(VALU_DEP_3) | instskip(NEXT) | instid1(VALU_DEP_2)
	v_add_f64_e32 v[2:3], v[20:21], v[2:3]
	v_add_f64_e32 v[0:1], v[58:59], v[0:1]
	s_delay_alu instid0(VALU_DEP_2) | instskip(NEXT) | instid1(VALU_DEP_2)
	v_add_f64_e32 v[2:3], v[22:23], v[2:3]
	v_add_f64_e32 v[0:1], v[52:53], v[0:1]
	s_delay_alu instid0(VALU_DEP_2) | instskip(NEXT) | instid1(VALU_DEP_2)
	;; [unrolled: 3-line block ×4, first 2 shown]
	v_add_f64_e32 v[2:3], v[4:5], v[2:3]
	v_add_f64_e32 v[0:1], v[40:41], v[0:1]
	s_delay_alu instid0(VALU_DEP_2) | instskip(SKIP_2) | instid1(VALU_DEP_4)
	v_add_f64_e32 v[2:3], v[6:7], v[2:3]
	v_add_f64_e32 v[6:7], v[16:17], v[6:7]
	v_mul_f64_e32 v[16:17], s[40:41], v[159:160]
	v_add_f64_e32 v[0:1], v[36:37], v[0:1]
	s_delay_alu instid0(VALU_DEP_4) | instskip(SKIP_3) | instid1(VALU_DEP_2)
	v_add_f64_e32 v[2:3], v[62:63], v[2:3]
	scratch_store_b64 off, v[16:17], off offset:120 ; 8-byte Folded Spill
	v_add_f64_e32 v[0:1], v[8:9], v[0:1]
	v_add_f64_e32 v[2:3], v[38:39], v[2:3]
	;; [unrolled: 1-line block ×3, first 2 shown]
	s_delay_alu instid0(VALU_DEP_2) | instskip(NEXT) | instid1(VALU_DEP_2)
	v_add_f64_e32 v[2:3], v[42:43], v[2:3]
	v_add_f64_e32 v[0:1], v[12:13], v[0:1]
	s_delay_alu instid0(VALU_DEP_2) | instskip(NEXT) | instid1(VALU_DEP_2)
	v_add_f64_e32 v[2:3], v[46:47], v[2:3]
	v_add_f64_e32 v[0:1], v[14:15], v[0:1]
	s_delay_alu instid0(VALU_DEP_2) | instskip(SKIP_4) | instid1(VALU_DEP_1)
	v_add_f64_e32 v[66:67], v[26:27], v[2:3]
	v_add_f64_e32 v[14:15], v[20:21], v[38:39]
	v_mul_f64_e32 v[38:39], s[24:25], v[165:166]
	v_mul_f64_e32 v[20:21], s[36:37], v[177:178]
	v_add_f64_e32 v[0:1], v[48:49], v[0:1]
	v_add_f64_e32 v[2:3], v[50:51], v[0:1]
	v_add_f64_e32 v[0:1], v[54:55], v[66:67]
	v_mad_co_u64_u32 v[66:67], null, s8, v146, 0
	s_delay_alu instid0(VALU_DEP_1) | instskip(SKIP_1) | instid1(VALU_DEP_2)
	v_mad_co_u64_u32 v[74:75], null, s9, v146, v[67:68]
	v_mul_f64_e32 v[68:69], s[22:23], v[159:160]
	v_mov_b32_e32 v67, v74
	v_mul_f64_e32 v[74:75], s[44:45], v[165:166]
	s_delay_alu instid0(VALU_DEP_2) | instskip(NEXT) | instid1(VALU_DEP_1)
	v_lshlrev_b64_e32 v[66:67], 4, v[66:67]
	v_add_co_u32 v66, vcc_lo, v147, v66
	s_wait_alu 0xfffd
	s_delay_alu instid0(VALU_DEP_2)
	v_add_co_ci_u32_e32 v67, vcc_lo, v148, v67, vcc_lo
	global_store_b128 v[66:67], v[0:3], off
	v_add_f64_e32 v[66:67], v[72:73], v[50:51]
	v_add_f64_e32 v[0:1], v[18:19], v[4:5]
	v_mul_f64_e32 v[4:5], s[30:31], v[155:156]
	v_add_f64_e32 v[50:51], v[32:33], v[54:55]
	v_add_f64_e32 v[54:55], v[64:65], v[48:49]
	;; [unrolled: 1-line block ×3, first 2 shown]
	v_mul_f64_e32 v[18:19], s[40:41], v[157:158]
	v_add_f64_e32 v[34:35], v[28:29], v[46:47]
	v_add_f64_e32 v[32:33], v[56:57], v[12:13]
	;; [unrolled: 1-line block ×8, first 2 shown]
	v_mul_f64_e32 v[58:59], s[42:43], v[155:156]
	v_mul_f64_e32 v[56:57], s[28:29], v[157:158]
	;; [unrolled: 1-line block ×9, first 2 shown]
	v_add_nc_u32_e32 v36, 0x138, v146
	scratch_store_b64 off, v[4:5], off offset:96 ; 8-byte Folded Spill
	v_fma_f64 v[4:5], v[66:67], s[0:1], -v[4:5]
	v_fma_f64 v[16:17], v[54:55], s[2:3], -v[16:17]
	v_fma_f64 v[130:131], v[48:49], s[12:13], v[191:192]
	v_fma_f64 v[211:212], v[48:49], s[10:11], v[209:210]
	;; [unrolled: 1-line block ×3, first 2 shown]
	scratch_store_b64 off, v[18:19], off offset:112 ; 8-byte Folded Spill
	v_fma_f64 v[18:19], v[48:49], s[2:3], v[18:19]
	v_fma_f64 v[98:99], v[48:49], s[14:15], v[56:57]
	v_fma_f64 v[56:57], v[48:49], s[14:15], -v[56:57]
	v_add_f64_e32 v[4:5], v[70:71], v[4:5]
	s_delay_alu instid0(VALU_DEP_1) | instskip(SKIP_3) | instid1(VALU_DEP_1)
	v_add_f64_e32 v[4:5], v[16:17], v[4:5]
	v_mul_f64_e32 v[16:17], s[30:31], v[153:154]
	scratch_store_b64 off, v[16:17], off offset:88 ; 8-byte Folded Spill
	v_fma_f64 v[16:17], v[50:51], s[0:1], v[16:17]
	v_add_f64_e32 v[16:17], v[199:200], v[16:17]
	s_delay_alu instid0(VALU_DEP_1) | instskip(SKIP_3) | instid1(VALU_DEP_1)
	v_add_f64_e32 v[16:17], v[18:19], v[16:17]
	v_mul_f64_e32 v[18:19], s[42:43], v[163:164]
	scratch_store_b64 off, v[18:19], off offset:152 ; 8-byte Folded Spill
	v_fma_f64 v[18:19], v[60:61], s[4:5], -v[18:19]
	v_add_f64_e32 v[4:5], v[18:19], v[4:5]
	v_mul_f64_e32 v[18:19], s[42:43], v[161:162]
	scratch_store_b64 off, v[18:19], off offset:80 ; 8-byte Folded Spill
	v_fma_f64 v[18:19], v[34:35], s[4:5], v[18:19]
	s_delay_alu instid0(VALU_DEP_1) | instskip(SKIP_3) | instid1(VALU_DEP_1)
	v_add_f64_e32 v[16:17], v[18:19], v[16:17]
	v_mul_f64_e32 v[18:19], s[38:39], v[167:168]
	scratch_store_b64 off, v[18:19], off offset:72 ; 8-byte Folded Spill
	v_fma_f64 v[18:19], v[32:33], s[6:7], -v[18:19]
	v_add_f64_e32 v[4:5], v[18:19], v[4:5]
	v_mul_f64_e32 v[18:19], s[38:39], v[165:166]
	scratch_store_b64 off, v[18:19], off offset:64 ; 8-byte Folded Spill
	v_fma_f64 v[18:19], v[28:29], s[6:7], v[18:19]
	;; [unrolled: 9-line block ×4, first 2 shown]
	s_delay_alu instid0(VALU_DEP_1) | instskip(SKIP_3) | instid1(VALU_DEP_1)
	v_add_f64_e32 v[16:17], v[18:19], v[16:17]
	v_mul_f64_e32 v[18:19], s[34:35], v[179:180]
	scratch_store_b64 off, v[18:19], off offset:24 ; 8-byte Folded Spill
	v_fma_f64 v[18:19], v[8:9], s[10:11], -v[18:19]
	v_add_f64_e32 v[4:5], v[18:19], v[4:5]
	v_mul_f64_e32 v[18:19], s[34:35], v[177:178]
	s_delay_alu instid0(VALU_DEP_1) | instskip(NEXT) | instid1(VALU_DEP_1)
	v_fma_f64 v[52:53], v[6:7], s[10:11], v[18:19]
	v_add_f64_e32 v[52:53], v[52:53], v[16:17]
	v_mul_f64_e32 v[16:17], s[36:37], v[183:184]
	s_delay_alu instid0(VALU_DEP_1) | instskip(NEXT) | instid1(VALU_DEP_1)
	v_fma_f64 v[62:63], v[2:3], s[12:13], -v[16:17]
	v_add_f64_e32 v[64:65], v[62:63], v[4:5]
	v_mul_f64_e32 v[4:5], s[36:37], v[181:182]
	s_clause 0x1
	scratch_store_b64 off, v[18:19], off offset:16
	scratch_store_b64 off, v[16:17], off offset:8
	v_mul_f64_e32 v[18:19], s[22:23], v[183:184]
	v_mul_f64_e32 v[16:17], s[22:23], v[181:182]
	scratch_store_b64 off, v[4:5], off      ; 8-byte Folded Spill
	v_fma_f64 v[62:63], v[0:1], s[12:13], v[4:5]
	v_add_nc_u32_e32 v4, 52, v146
	s_delay_alu instid0(VALU_DEP_2) | instskip(NEXT) | instid1(VALU_DEP_2)
	v_add_f64_e32 v[62:63], v[62:63], v[52:53]
	v_mad_co_u64_u32 v[52:53], null, s8, v4, 0
	s_delay_alu instid0(VALU_DEP_1) | instskip(SKIP_1) | instid1(VALU_DEP_2)
	v_mad_co_u64_u32 v[72:73], null, s9, v4, v[53:54]
	v_mul_f64_e32 v[4:5], s[46:47], v[171:172]
	v_mov_b32_e32 v53, v72
	v_mul_f64_e32 v[72:73], s[44:45], v[167:168]
	s_delay_alu instid0(VALU_DEP_2) | instskip(NEXT) | instid1(VALU_DEP_1)
	v_lshlrev_b64_e32 v[52:53], 4, v[52:53]
	v_add_co_u32 v52, vcc_lo, v147, v52
	s_wait_alu 0xfffd
	s_delay_alu instid0(VALU_DEP_2)
	v_add_co_ci_u32_e32 v53, vcc_lo, v148, v53, vcc_lo
	global_store_b128 v[52:53], v[62:65], off
	v_fma_f64 v[52:53], v[66:67], s[2:3], -v[96:97]
	v_fma_f64 v[62:63], v[54:55], s[6:7], -v[102:103]
	v_fma_f64 v[64:65], v[48:49], s[6:7], v[100:101]
	scratch_store_b64 off, v[4:5], off offset:184 ; 8-byte Folded Spill
	v_add_f64_e32 v[52:53], v[70:71], v[52:53]
	s_delay_alu instid0(VALU_DEP_1) | instskip(SKIP_1) | instid1(VALU_DEP_1)
	v_add_f64_e32 v[52:53], v[62:63], v[52:53]
	v_fma_f64 v[62:63], v[50:51], s[2:3], v[94:95]
	v_add_f64_e32 v[62:63], v[199:200], v[62:63]
	s_delay_alu instid0(VALU_DEP_1) | instskip(SKIP_1) | instid1(VALU_DEP_1)
	v_add_f64_e32 v[62:63], v[64:65], v[62:63]
	v_fma_f64 v[64:65], v[60:61], s[14:15], -v[108:109]
	v_add_f64_e32 v[52:53], v[64:65], v[52:53]
	v_fma_f64 v[64:65], v[34:35], s[14:15], v[90:91]
	s_delay_alu instid0(VALU_DEP_1) | instskip(SKIP_1) | instid1(VALU_DEP_1)
	v_add_f64_e32 v[62:63], v[64:65], v[62:63]
	v_fma_f64 v[64:65], v[32:33], s[12:13], -v[86:87]
	v_add_f64_e32 v[52:53], v[64:65], v[52:53]
	v_fma_f64 v[64:65], v[28:29], s[12:13], v[84:85]
	s_delay_alu instid0(VALU_DEP_1) | instskip(SKIP_2) | instid1(VALU_DEP_2)
	v_add_f64_e32 v[62:63], v[64:65], v[62:63]
	v_fma_f64 v[64:65], v[26:27], s[10:11], -v[4:5]
	v_mul_f64_e32 v[4:5], s[46:47], v[169:170]
	v_add_f64_e32 v[52:53], v[64:65], v[52:53]
	scratch_store_b64 off, v[4:5], off offset:176 ; 8-byte Folded Spill
	v_fma_f64 v[64:65], v[14:15], s[10:11], v[4:5]
	v_mul_f64_e32 v[4:5], s[44:45], v[175:176]
	s_delay_alu instid0(VALU_DEP_2) | instskip(SKIP_3) | instid1(VALU_DEP_2)
	v_add_f64_e32 v[62:63], v[64:65], v[62:63]
	scratch_store_b64 off, v[4:5], off offset:168 ; 8-byte Folded Spill
	v_fma_f64 v[64:65], v[12:13], s[16:17], -v[4:5]
	v_mul_f64_e32 v[4:5], s[44:45], v[173:174]
	v_add_f64_e32 v[52:53], v[64:65], v[52:53]
	scratch_store_b64 off, v[4:5], off offset:160 ; 8-byte Folded Spill
	v_fma_f64 v[64:65], v[10:11], s[16:17], v[4:5]
	v_mul_f64_e32 v[4:5], s[22:23], v[179:180]
	s_delay_alu instid0(VALU_DEP_2) | instskip(SKIP_3) | instid1(VALU_DEP_2)
	v_add_f64_e32 v[62:63], v[64:65], v[62:63]
	scratch_store_b64 off, v[4:5], off offset:144 ; 8-byte Folded Spill
	v_fma_f64 v[64:65], v[8:9], s[4:5], -v[4:5]
	v_mul_f64_e32 v[4:5], s[22:23], v[177:178]
	v_add_f64_e32 v[52:53], v[64:65], v[52:53]
	scratch_store_b64 off, v[4:5], off offset:136 ; 8-byte Folded Spill
	v_fma_f64 v[88:89], v[6:7], s[4:5], v[4:5]
	v_mul_f64_e32 v[4:5], s[24:25], v[183:184]
	v_mul_f64_e32 v[64:65], s[48:49], v[161:162]
	s_mov_b32 s49, 0x3fe9895b
	s_mov_b32 s48, s28
	s_wait_alu 0xfffe
	v_mul_f64_e32 v[126:127], s[48:49], v[165:166]
	s_delay_alu instid0(VALU_DEP_4)
	v_add_f64_e32 v[88:89], v[88:89], v[62:63]
	scratch_store_b64 off, v[4:5], off offset:128 ; 8-byte Folded Spill
	v_fma_f64 v[92:93], v[2:3], s[0:1], -v[4:5]
	v_mul_f64_e32 v[4:5], s[24:25], v[181:182]
	v_mul_f64_e32 v[62:63], s[42:43], v[153:154]
	;; [unrolled: 1-line block ×3, first 2 shown]
	s_delay_alu instid0(VALU_DEP_4) | instskip(NEXT) | instid1(VALU_DEP_4)
	v_add_f64_e32 v[106:107], v[92:93], v[52:53]
	v_fma_f64 v[92:93], v[0:1], s[0:1], v[4:5]
	scratch_store_b64 off, v[4:5], off offset:104 ; 8-byte Folded Spill
	v_add_nc_u32_e32 v4, 0x68, v146
	v_mul_f64_e32 v[52:53], s[28:29], v[159:160]
	v_add_f64_e32 v[104:105], v[92:93], v[88:89]
	s_delay_alu instid0(VALU_DEP_3) | instskip(NEXT) | instid1(VALU_DEP_1)
	v_mad_co_u64_u32 v[88:89], null, s8, v4, 0
	v_mad_co_u64_u32 v[92:93], null, s9, v4, v[89:90]
	s_delay_alu instid0(VALU_DEP_1) | instskip(SKIP_1) | instid1(VALU_DEP_2)
	v_dual_mov_b32 v89, v92 :: v_dual_add_nc_u32 v4, 0x9c, v146
	v_fma_f64 v[92:93], v[54:55], s[14:15], -v[52:53]
	v_lshlrev_b64_e32 v[88:89], 4, v[88:89]
	s_delay_alu instid0(VALU_DEP_1) | instskip(SKIP_1) | instid1(VALU_DEP_2)
	v_add_co_u32 v88, vcc_lo, v147, v88
	s_wait_alu 0xfffd
	v_add_co_ci_u32_e32 v89, vcc_lo, v148, v89, vcc_lo
	global_store_b128 v[88:89], v[104:107], off
	v_fma_f64 v[88:89], v[66:67], s[4:5], -v[58:59]
	v_mul_f64_e32 v[106:107], s[30:31], v[173:174]
	v_mul_f64_e32 v[104:105], s[38:39], v[179:180]
	s_delay_alu instid0(VALU_DEP_3) | instskip(NEXT) | instid1(VALU_DEP_1)
	v_add_f64_e32 v[88:89], v[70:71], v[88:89]
	v_add_f64_e32 v[88:89], v[92:93], v[88:89]
	v_fma_f64 v[92:93], v[50:51], s[4:5], v[62:63]
	v_fma_f64 v[62:63], v[50:51], s[4:5], -v[62:63]
	s_delay_alu instid0(VALU_DEP_2) | instskip(NEXT) | instid1(VALU_DEP_2)
	v_add_f64_e32 v[92:93], v[199:200], v[92:93]
	v_add_f64_e32 v[62:63], v[199:200], v[62:63]
	s_delay_alu instid0(VALU_DEP_2) | instskip(SKIP_1) | instid1(VALU_DEP_1)
	v_add_f64_e32 v[92:93], v[98:99], v[92:93]
	v_fma_f64 v[98:99], v[60:61], s[12:13], -v[44:45]
	v_add_f64_e32 v[88:89], v[98:99], v[88:89]
	v_fma_f64 v[98:99], v[34:35], s[12:13], v[64:65]
	s_delay_alu instid0(VALU_DEP_1) | instskip(SKIP_1) | instid1(VALU_DEP_1)
	v_add_f64_e32 v[92:93], v[98:99], v[92:93]
	v_fma_f64 v[98:99], v[32:33], s[16:17], -v[72:73]
	v_add_f64_e32 v[88:89], v[98:99], v[88:89]
	v_fma_f64 v[98:99], v[28:29], s[16:17], v[74:75]
	s_delay_alu instid0(VALU_DEP_1) | instskip(SKIP_1) | instid1(VALU_DEP_1)
	;; [unrolled: 5-line block ×4, first 2 shown]
	v_add_f64_e32 v[92:93], v[98:99], v[92:93]
	v_fma_f64 v[98:99], v[8:9], s[6:7], -v[104:105]
	v_add_f64_e32 v[88:89], v[98:99], v[88:89]
	v_mul_f64_e32 v[98:99], s[38:39], v[177:178]
	s_delay_alu instid0(VALU_DEP_1) | instskip(NEXT) | instid1(VALU_DEP_1)
	v_fma_f64 v[120:121], v[6:7], s[6:7], v[98:99]
	v_add_f64_e32 v[120:121], v[120:121], v[92:93]
	v_mul_f64_e32 v[92:93], s[34:35], v[183:184]
	s_delay_alu instid0(VALU_DEP_1) | instskip(NEXT) | instid1(VALU_DEP_1)
	v_fma_f64 v[124:125], v[2:3], s[10:11], -v[92:93]
	v_add_f64_e32 v[138:139], v[124:125], v[88:89]
	v_mul_f64_e32 v[88:89], s[34:35], v[181:182]
	s_delay_alu instid0(VALU_DEP_1) | instskip(NEXT) | instid1(VALU_DEP_1)
	v_fma_f64 v[124:125], v[0:1], s[10:11], v[88:89]
	v_add_f64_e32 v[136:137], v[124:125], v[120:121]
	v_mad_co_u64_u32 v[120:121], null, s8, v4, 0
	s_delay_alu instid0(VALU_DEP_1) | instskip(SKIP_2) | instid1(VALU_DEP_3)
	v_mad_co_u64_u32 v[124:125], null, s9, v4, v[121:122]
	v_add_nc_u32_e32 v4, 0xd0, v146
	v_mul_f64_e32 v[122:123], s[48:49], v[167:168]
	v_mov_b32_e32 v121, v124
	v_fma_f64 v[124:125], v[54:55], s[12:13], -v[187:188]
	s_delay_alu instid0(VALU_DEP_2) | instskip(NEXT) | instid1(VALU_DEP_1)
	v_lshlrev_b64_e32 v[120:121], 4, v[120:121]
	v_add_co_u32 v120, vcc_lo, v147, v120
	s_wait_alu 0xfffd
	s_delay_alu instid0(VALU_DEP_2) | instskip(SKIP_4) | instid1(VALU_DEP_3)
	v_add_co_ci_u32_e32 v121, vcc_lo, v148, v121, vcc_lo
	global_store_b128 v[120:121], v[136:139], off
	v_fma_f64 v[120:121], v[66:67], s[6:7], -v[185:186]
	v_mul_f64_e32 v[138:139], s[34:35], v[173:174]
	v_mul_f64_e32 v[136:137], s[48:49], v[179:180]
	v_add_f64_e32 v[120:121], v[70:71], v[120:121]
	s_delay_alu instid0(VALU_DEP_1) | instskip(SKIP_1) | instid1(VALU_DEP_1)
	v_add_f64_e32 v[120:121], v[124:125], v[120:121]
	v_fma_f64 v[124:125], v[50:51], s[6:7], v[189:190]
	v_add_f64_e32 v[124:125], v[199:200], v[124:125]
	s_delay_alu instid0(VALU_DEP_1) | instskip(SKIP_1) | instid1(VALU_DEP_1)
	v_add_f64_e32 v[124:125], v[130:131], v[124:125]
	v_fma_f64 v[130:131], v[60:61], s[16:17], -v[193:194]
	v_add_f64_e32 v[120:121], v[130:131], v[120:121]
	v_fma_f64 v[130:131], v[34:35], s[16:17], v[195:196]
	s_delay_alu instid0(VALU_DEP_1) | instskip(SKIP_1) | instid1(VALU_DEP_1)
	v_add_f64_e32 v[124:125], v[130:131], v[124:125]
	v_fma_f64 v[130:131], v[32:33], s[0:1], -v[197:198]
	v_add_f64_e32 v[120:121], v[130:131], v[120:121]
	v_fma_f64 v[130:131], v[28:29], s[0:1], v[38:39]
	v_fma_f64 v[38:39], v[28:29], s[0:1], -v[38:39]
	s_delay_alu instid0(VALU_DEP_2) | instskip(SKIP_1) | instid1(VALU_DEP_1)
	v_add_f64_e32 v[124:125], v[130:131], v[124:125]
	v_fma_f64 v[130:131], v[26:27], s[4:5], -v[40:41]
	v_add_f64_e32 v[120:121], v[130:131], v[120:121]
	v_fma_f64 v[130:131], v[14:15], s[4:5], v[42:43]
	s_delay_alu instid0(VALU_DEP_1) | instskip(SKIP_1) | instid1(VALU_DEP_1)
	v_add_f64_e32 v[124:125], v[130:131], v[124:125]
	v_fma_f64 v[130:131], v[12:13], s[10:11], -v[46:47]
	v_add_f64_e32 v[120:121], v[130:131], v[120:121]
	v_fma_f64 v[130:131], v[10:11], s[10:11], v[138:139]
	s_delay_alu instid0(VALU_DEP_1) | instskip(SKIP_1) | instid1(VALU_DEP_1)
	v_add_f64_e32 v[124:125], v[130:131], v[124:125]
	v_fma_f64 v[130:131], v[8:9], s[14:15], -v[136:137]
	v_add_f64_e32 v[120:121], v[130:131], v[120:121]
	v_mul_f64_e32 v[130:131], s[48:49], v[177:178]
	s_delay_alu instid0(VALU_DEP_1) | instskip(NEXT) | instid1(VALU_DEP_1)
	v_fma_f64 v[149:150], v[6:7], s[14:15], v[130:131]
	v_add_f64_e32 v[149:150], v[149:150], v[124:125]
	v_mul_f64_e32 v[124:125], s[18:19], v[183:184]
	s_delay_alu instid0(VALU_DEP_1) | instskip(NEXT) | instid1(VALU_DEP_1)
	v_fma_f64 v[151:152], v[2:3], s[2:3], -v[124:125]
	v_add_f64_e32 v[151:152], v[151:152], v[120:121]
	v_mul_f64_e32 v[120:121], s[18:19], v[181:182]
	s_delay_alu instid0(VALU_DEP_1) | instskip(NEXT) | instid1(VALU_DEP_1)
	v_fma_f64 v[203:204], v[0:1], s[2:3], v[120:121]
	v_add_f64_e32 v[149:150], v[203:204], v[149:150]
	v_mad_co_u64_u32 v[203:204], null, s8, v4, 0
	s_delay_alu instid0(VALU_DEP_1) | instskip(SKIP_2) | instid1(VALU_DEP_3)
	v_mad_co_u64_u32 v[204:205], null, s9, v4, v[204:205]
	v_mul_f64_e32 v[205:206], s[46:47], v[159:160]
	v_add_nc_u32_e32 v4, 0x104, v146
	v_lshlrev_b64_e32 v[203:204], 4, v[203:204]
	s_delay_alu instid0(VALU_DEP_1) | instskip(SKIP_1) | instid1(VALU_DEP_2)
	v_add_co_u32 v203, vcc_lo, v147, v203
	s_wait_alu 0xfffd
	v_add_co_ci_u32_e32 v204, vcc_lo, v148, v204, vcc_lo
	global_store_b128 v[203:204], v[149:152], off
	v_mul_f64_e32 v[203:204], s[26:27], v[155:156]
	v_fma_f64 v[151:152], v[54:55], s[10:11], -v[205:206]
	s_delay_alu instid0(VALU_DEP_2) | instskip(NEXT) | instid1(VALU_DEP_1)
	v_fma_f64 v[149:150], v[66:67], s[16:17], -v[203:204]
	v_add_f64_e32 v[149:150], v[70:71], v[149:150]
	s_delay_alu instid0(VALU_DEP_1) | instskip(SKIP_1) | instid1(VALU_DEP_1)
	v_add_f64_e32 v[149:150], v[151:152], v[149:150]
	v_fma_f64 v[151:152], v[50:51], s[16:17], v[207:208]
	v_add_f64_e32 v[151:152], v[199:200], v[151:152]
	s_delay_alu instid0(VALU_DEP_1) | instskip(SKIP_1) | instid1(VALU_DEP_1)
	v_add_f64_e32 v[151:152], v[211:212], v[151:152]
	v_mul_f64_e32 v[211:212], s[18:19], v[163:164]
	v_fma_f64 v[213:214], v[60:61], s[2:3], -v[211:212]
	s_delay_alu instid0(VALU_DEP_1) | instskip(SKIP_1) | instid1(VALU_DEP_1)
	v_add_f64_e32 v[149:150], v[213:214], v[149:150]
	v_mul_f64_e32 v[213:214], s[18:19], v[161:162]
	v_fma_f64 v[215:216], v[34:35], s[2:3], v[213:214]
	s_delay_alu instid0(VALU_DEP_1) | instskip(SKIP_1) | instid1(VALU_DEP_1)
	v_add_f64_e32 v[151:152], v[215:216], v[151:152]
	v_mul_f64_e32 v[215:216], s[42:43], v[167:168]
	v_fma_f64 v[217:218], v[32:33], s[4:5], -v[215:216]
	s_delay_alu instid0(VALU_DEP_1) | instskip(SKIP_1) | instid1(VALU_DEP_1)
	v_add_f64_e32 v[149:150], v[217:218], v[149:150]
	v_mul_f64_e32 v[217:218], s[42:43], v[165:166]
	v_fma_f64 v[219:220], v[28:29], s[4:5], v[217:218]
	;; [unrolled: 8-line block ×5, first 2 shown]
	s_delay_alu instid0(VALU_DEP_1) | instskip(SKIP_1) | instid1(VALU_DEP_1)
	v_add_f64_e32 v[231:232], v[231:232], v[151:152]
	v_fma_f64 v[151:152], v[2:3], s[14:15], -v[233:234]
	v_add_f64_e32 v[151:152], v[151:152], v[149:150]
	v_fma_f64 v[149:150], v[0:1], s[14:15], v[235:236]
	s_delay_alu instid0(VALU_DEP_1) | instskip(SKIP_1) | instid1(VALU_DEP_1)
	v_add_f64_e32 v[149:150], v[149:150], v[231:232]
	v_mad_co_u64_u32 v[231:232], null, s8, v4, 0
	v_mad_co_u64_u32 v[237:238], null, s9, v4, v[232:233]
	s_delay_alu instid0(VALU_DEP_1) | instskip(SKIP_1) | instid1(VALU_DEP_2)
	v_mov_b32_e32 v232, v237
	v_mul_f64_e32 v[237:238], s[44:45], v[159:160]
	v_lshlrev_b64_e32 v[231:232], 4, v[231:232]
	s_delay_alu instid0(VALU_DEP_1) | instskip(SKIP_1) | instid1(VALU_DEP_2)
	v_add_co_u32 v231, vcc_lo, v147, v231
	s_wait_alu 0xfffd
	v_add_co_ci_u32_e32 v232, vcc_lo, v148, v232, vcc_lo
	global_store_b128 v[231:232], v[149:152], off
	v_mul_f64_e32 v[231:232], s[28:29], v[155:156]
	v_fma_f64 v[151:152], v[54:55], s[16:17], -v[237:238]
	s_delay_alu instid0(VALU_DEP_2) | instskip(NEXT) | instid1(VALU_DEP_1)
	v_fma_f64 v[149:150], v[66:67], s[14:15], -v[231:232]
	v_add_f64_e32 v[149:150], v[70:71], v[149:150]
	s_delay_alu instid0(VALU_DEP_1) | instskip(SKIP_1) | instid1(VALU_DEP_1)
	v_add_f64_e32 v[149:150], v[151:152], v[149:150]
	v_fma_f64 v[151:152], v[50:51], s[14:15], v[239:240]
	v_add_f64_e32 v[151:152], v[199:200], v[151:152]
	s_delay_alu instid0(VALU_DEP_1) | instskip(SKIP_1) | instid1(VALU_DEP_1)
	v_add_f64_e32 v[151:152], v[243:244], v[151:152]
	v_mul_f64_e32 v[243:244], s[30:31], v[163:164]
	v_fma_f64 v[245:246], v[60:61], s[0:1], -v[243:244]
	s_delay_alu instid0(VALU_DEP_1) | instskip(SKIP_1) | instid1(VALU_DEP_1)
	v_add_f64_e32 v[149:150], v[245:246], v[149:150]
	v_mul_f64_e32 v[245:246], s[30:31], v[161:162]
	v_fma_f64 v[247:248], v[34:35], s[0:1], v[245:246]
	s_delay_alu instid0(VALU_DEP_1) | instskip(SKIP_1) | instid1(VALU_DEP_1)
	v_add_f64_e32 v[151:152], v[247:248], v[151:152]
	v_mul_f64_e32 v[247:248], s[34:35], v[167:168]
	v_fma_f64 v[249:250], v[32:33], s[10:11], -v[247:248]
	s_delay_alu instid0(VALU_DEP_1) | instskip(SKIP_1) | instid1(VALU_DEP_1)
	v_add_f64_e32 v[149:150], v[249:250], v[149:150]
	v_mul_f64_e32 v[249:250], s[34:35], v[165:166]
	v_fma_f64 v[251:252], v[28:29], s[10:11], v[249:250]
	;; [unrolled: 8-line block ×3, first 2 shown]
	s_delay_alu instid0(VALU_DEP_1) | instskip(SKIP_2) | instid1(VALU_DEP_2)
	v_add_f64_e32 v[4:5], v[4:5], v[151:152]
	v_fma_f64 v[151:152], v[12:13], s[2:3], -v[30:31]
	v_fma_f64 v[30:31], v[12:13], s[2:3], v[30:31]
	v_add_f64_e32 v[149:150], v[151:152], v[149:150]
	v_fma_f64 v[151:152], v[10:11], s[2:3], v[24:25]
	v_fma_f64 v[24:25], v[10:11], s[2:3], -v[24:25]
	s_delay_alu instid0(VALU_DEP_2) | instskip(SKIP_2) | instid1(VALU_DEP_2)
	v_add_f64_e32 v[4:5], v[151:152], v[4:5]
	v_fma_f64 v[151:152], v[8:9], s[12:13], -v[22:23]
	v_fma_f64 v[22:23], v[8:9], s[12:13], v[22:23]
	v_add_f64_e32 v[149:150], v[151:152], v[149:150]
	v_fma_f64 v[151:152], v[6:7], s[12:13], v[20:21]
	v_fma_f64 v[20:21], v[6:7], s[12:13], -v[20:21]
	s_delay_alu instid0(VALU_DEP_2) | instskip(SKIP_2) | instid1(VALU_DEP_2)
	v_add_f64_e32 v[4:5], v[151:152], v[4:5]
	v_fma_f64 v[151:152], v[2:3], s[4:5], -v[18:19]
	v_fma_f64 v[18:19], v[2:3], s[4:5], v[18:19]
	v_add_f64_e32 v[151:152], v[151:152], v[149:150]
	v_fma_f64 v[149:150], v[0:1], s[4:5], v[16:17]
	v_fma_f64 v[16:17], v[0:1], s[4:5], -v[16:17]
	s_delay_alu instid0(VALU_DEP_2) | instskip(SKIP_1) | instid1(VALU_DEP_1)
	v_add_f64_e32 v[149:150], v[149:150], v[4:5]
	v_mad_co_u64_u32 v[4:5], null, s8, v36, 0
	v_mad_co_u64_u32 v[36:37], null, s9, v36, v[5:6]
	s_delay_alu instid0(VALU_DEP_1) | instskip(NEXT) | instid1(VALU_DEP_1)
	v_mov_b32_e32 v5, v36
	v_lshlrev_b64_e32 v[4:5], 4, v[4:5]
	s_delay_alu instid0(VALU_DEP_1) | instskip(SKIP_1) | instid1(VALU_DEP_2)
	v_add_co_u32 v4, vcc_lo, v147, v4
	s_wait_alu 0xfffd
	v_add_co_ci_u32_e32 v5, vcc_lo, v148, v5, vcc_lo
	global_store_b128 v[4:5], v[149:152], off
	v_mul_f64_e32 v[4:5], s[34:35], v[155:156]
	v_fma_f64 v[149:150], v[54:55], s[4:5], -v[68:69]
	v_fma_f64 v[151:152], v[48:49], s[4:5], v[114:115]
	v_fma_f64 v[68:69], v[54:55], s[4:5], v[68:69]
	s_delay_alu instid0(VALU_DEP_4) | instskip(SKIP_1) | instid1(VALU_DEP_2)
	v_fma_f64 v[36:37], v[66:67], s[10:11], -v[4:5]
	v_fma_f64 v[4:5], v[66:67], s[10:11], v[4:5]
	v_add_f64_e32 v[36:37], v[70:71], v[36:37]
	s_delay_alu instid0(VALU_DEP_2) | instskip(NEXT) | instid1(VALU_DEP_2)
	v_add_f64_e32 v[4:5], v[70:71], v[4:5]
	v_add_f64_e32 v[36:37], v[149:150], v[36:37]
	v_fma_f64 v[149:150], v[50:51], s[10:11], v[80:81]
	s_delay_alu instid0(VALU_DEP_3) | instskip(SKIP_1) | instid1(VALU_DEP_3)
	v_add_f64_e32 v[4:5], v[68:69], v[4:5]
	v_fma_f64 v[68:69], v[50:51], s[10:11], -v[80:81]
	v_add_f64_e32 v[149:150], v[199:200], v[149:150]
	s_delay_alu instid0(VALU_DEP_2) | instskip(NEXT) | instid1(VALU_DEP_2)
	v_add_f64_e32 v[68:69], v[199:200], v[68:69]
	v_add_f64_e32 v[149:150], v[151:152], v[149:150]
	v_fma_f64 v[151:152], v[60:61], s[6:7], -v[116:117]
	s_delay_alu instid0(VALU_DEP_1) | instskip(SKIP_1) | instid1(VALU_DEP_1)
	v_add_f64_e32 v[36:37], v[151:152], v[36:37]
	v_fma_f64 v[151:152], v[34:35], s[6:7], v[118:119]
	v_add_f64_e32 v[149:150], v[151:152], v[149:150]
	v_fma_f64 v[151:152], v[32:33], s[14:15], -v[122:123]
	s_delay_alu instid0(VALU_DEP_1) | instskip(SKIP_1) | instid1(VALU_DEP_1)
	v_add_f64_e32 v[36:37], v[151:152], v[36:37]
	v_fma_f64 v[151:152], v[28:29], s[14:15], v[126:127]
	;; [unrolled: 5-line block ×5, first 2 shown]
	v_add_f64_e32 v[149:150], v[151:152], v[149:150]
	v_fma_f64 v[151:152], v[2:3], s[16:17], -v[201:202]
	s_delay_alu instid0(VALU_DEP_1) | instskip(SKIP_2) | instid1(VALU_DEP_2)
	v_add_f64_e32 v[151:152], v[151:152], v[36:37]
	v_mul_f64_e32 v[36:37], s[26:27], v[181:182]
	v_mul_f64_e32 v[181:182], s[20:21], v[181:182]
	v_fma_f64 v[78:79], v[0:1], s[16:17], v[36:37]
	v_fma_f64 v[36:37], v[0:1], s[16:17], -v[36:37]
	s_delay_alu instid0(VALU_DEP_2) | instskip(SKIP_1) | instid1(VALU_DEP_1)
	v_add_f64_e32 v[149:150], v[78:79], v[149:150]
	v_mad_co_u64_u32 v[78:79], null, s8, v82, 0
	v_mad_co_u64_u32 v[82:83], null, s9, v82, v[79:80]
	s_delay_alu instid0(VALU_DEP_1) | instskip(SKIP_1) | instid1(VALU_DEP_2)
	v_mov_b32_e32 v79, v82
	v_mul_f64_e32 v[82:83], s[24:25], v[159:160]
	v_lshlrev_b64_e32 v[78:79], 4, v[78:79]
	s_delay_alu instid0(VALU_DEP_1) | instskip(SKIP_1) | instid1(VALU_DEP_2)
	v_add_co_u32 v78, vcc_lo, v147, v78
	s_wait_alu 0xfffd
	v_add_co_ci_u32_e32 v79, vcc_lo, v148, v79, vcc_lo
	global_store_b128 v[78:79], v[149:152], off
	v_mul_f64_e32 v[78:79], s[36:37], v[155:156]
	v_mul_f64_e32 v[155:156], s[24:25], v[157:158]
	v_fma_f64 v[151:152], v[54:55], s[0:1], -v[82:83]
	v_fma_f64 v[82:83], v[54:55], s[0:1], v[82:83]
	s_delay_alu instid0(VALU_DEP_4) | instskip(NEXT) | instid1(VALU_DEP_4)
	v_fma_f64 v[149:150], v[66:67], s[12:13], -v[78:79]
	v_fma_f64 v[157:158], v[48:49], s[0:1], v[155:156]
	v_fma_f64 v[78:79], v[66:67], s[12:13], v[78:79]
	s_delay_alu instid0(VALU_DEP_3) | instskip(NEXT) | instid1(VALU_DEP_2)
	v_add_f64_e32 v[149:150], v[70:71], v[149:150]
	v_add_f64_e32 v[78:79], v[70:71], v[78:79]
	s_delay_alu instid0(VALU_DEP_2) | instskip(SKIP_1) | instid1(VALU_DEP_3)
	v_add_f64_e32 v[149:150], v[151:152], v[149:150]
	v_fma_f64 v[151:152], v[50:51], s[12:13], v[153:154]
	v_add_f64_e32 v[78:79], v[82:83], v[78:79]
	v_fma_f64 v[82:83], v[50:51], s[12:13], -v[153:154]
	v_fma_f64 v[153:154], v[0:1], s[6:7], -v[181:182]
	s_delay_alu instid0(VALU_DEP_4) | instskip(NEXT) | instid1(VALU_DEP_3)
	v_add_f64_e32 v[151:152], v[199:200], v[151:152]
	v_add_f64_e32 v[82:83], v[199:200], v[82:83]
	s_delay_alu instid0(VALU_DEP_2) | instskip(SKIP_1) | instid1(VALU_DEP_1)
	v_add_f64_e32 v[151:152], v[157:158], v[151:152]
	v_mul_f64_e32 v[157:158], s[34:35], v[163:164]
	v_fma_f64 v[159:160], v[60:61], s[10:11], -v[157:158]
	s_delay_alu instid0(VALU_DEP_1) | instskip(SKIP_1) | instid1(VALU_DEP_1)
	v_add_f64_e32 v[149:150], v[159:160], v[149:150]
	v_mul_f64_e32 v[159:160], s[34:35], v[161:162]
	v_fma_f64 v[161:162], v[34:35], s[10:11], v[159:160]
	s_delay_alu instid0(VALU_DEP_1) | instskip(SKIP_1) | instid1(VALU_DEP_1)
	v_add_f64_e32 v[151:152], v[161:162], v[151:152]
	v_mul_f64_e32 v[161:162], s[18:19], v[167:168]
	v_fma_f64 v[163:164], v[32:33], s[2:3], -v[161:162]
	s_delay_alu instid0(VALU_DEP_1) | instskip(SKIP_1) | instid1(VALU_DEP_1)
	v_add_f64_e32 v[149:150], v[163:164], v[149:150]
	v_mul_f64_e32 v[163:164], s[18:19], v[165:166]
	v_fma_f64 v[165:166], v[28:29], s[2:3], v[163:164]
	s_delay_alu instid0(VALU_DEP_1) | instskip(SKIP_1) | instid1(VALU_DEP_1)
	;; [unrolled: 8-line block ×3, first 2 shown]
	v_add_f64_e32 v[151:152], v[169:170], v[151:152]
	v_mul_f64_e32 v[169:170], s[22:23], v[175:176]
	v_fma_f64 v[171:172], v[12:13], s[4:5], -v[169:170]
	s_delay_alu instid0(VALU_DEP_1) | instskip(SKIP_1) | instid1(VALU_DEP_1)
	v_add_f64_e32 v[149:150], v[171:172], v[149:150]
	v_mul_f64_e32 v[171:172], s[22:23], v[173:174]
	v_fma_f64 v[173:174], v[10:11], s[4:5], v[171:172]
	s_delay_alu instid0(VALU_DEP_1) | instskip(SKIP_3) | instid1(VALU_DEP_3)
	v_add_f64_e32 v[151:152], v[173:174], v[151:152]
	v_mul_f64_e32 v[173:174], s[26:27], v[179:180]
	v_mul_f64_e32 v[179:180], s[20:21], v[183:184]
	v_add_nc_u32_e32 v183, 0x1a0, v146
	v_fma_f64 v[175:176], v[8:9], s[16:17], -v[173:174]
	s_delay_alu instid0(VALU_DEP_1) | instskip(SKIP_1) | instid1(VALU_DEP_1)
	v_add_f64_e32 v[149:150], v[175:176], v[149:150]
	v_mul_f64_e32 v[175:176], s[26:27], v[177:178]
	v_fma_f64 v[177:178], v[6:7], s[16:17], v[175:176]
	s_delay_alu instid0(VALU_DEP_1) | instskip(SKIP_1) | instid1(VALU_DEP_1)
	v_add_f64_e32 v[177:178], v[177:178], v[151:152]
	v_fma_f64 v[151:152], v[2:3], s[6:7], -v[179:180]
	v_add_f64_e32 v[151:152], v[151:152], v[149:150]
	v_fma_f64 v[149:150], v[0:1], s[6:7], v[181:182]
	s_delay_alu instid0(VALU_DEP_1) | instskip(SKIP_1) | instid1(VALU_DEP_1)
	v_add_f64_e32 v[149:150], v[149:150], v[177:178]
	v_mad_co_u64_u32 v[177:178], null, s8, v183, 0
	v_mad_co_u64_u32 v[183:184], null, s9, v183, v[178:179]
	s_delay_alu instid0(VALU_DEP_1) | instskip(NEXT) | instid1(VALU_DEP_1)
	v_mov_b32_e32 v178, v183
	v_lshlrev_b64_e32 v[177:178], 4, v[177:178]
	s_delay_alu instid0(VALU_DEP_1) | instskip(SKIP_1) | instid1(VALU_DEP_2)
	v_add_co_u32 v177, vcc_lo, v147, v177
	s_wait_alu 0xfffd
	v_add_co_ci_u32_e32 v178, vcc_lo, v148, v178, vcc_lo
	global_store_b128 v[177:178], v[149:152], off
	v_fma_f64 v[149:150], v[48:49], s[0:1], -v[155:156]
	s_delay_alu instid0(VALU_DEP_1) | instskip(SKIP_1) | instid1(VALU_DEP_1)
	v_add_f64_e32 v[82:83], v[149:150], v[82:83]
	v_fma_f64 v[149:150], v[60:61], s[10:11], v[157:158]
	v_add_f64_e32 v[78:79], v[149:150], v[78:79]
	v_fma_f64 v[149:150], v[34:35], s[10:11], -v[159:160]
	s_delay_alu instid0(VALU_DEP_1) | instskip(SKIP_1) | instid1(VALU_DEP_1)
	v_add_f64_e32 v[82:83], v[149:150], v[82:83]
	v_fma_f64 v[149:150], v[32:33], s[2:3], v[161:162]
	v_add_f64_e32 v[78:79], v[149:150], v[78:79]
	;; [unrolled: 5-line block ×6, first 2 shown]
	s_delay_alu instid0(VALU_DEP_3) | instskip(SKIP_1) | instid1(VALU_DEP_1)
	v_add_f64_e32 v[149:150], v[153:154], v[82:83]
	v_add_nc_u32_e32 v82, 0x1d4, v146
	v_mad_co_u64_u32 v[78:79], null, s8, v82, 0
	s_delay_alu instid0(VALU_DEP_1) | instskip(SKIP_2) | instid1(VALU_DEP_1)
	v_mad_co_u64_u32 v[82:83], null, s9, v82, v[79:80]
	scratch_load_b64 v[80:81], off, off offset:88 th:TH_LOAD_LU ; 8-byte Folded Reload
	v_mov_b32_e32 v79, v82
	v_lshlrev_b64_e32 v[78:79], 4, v[78:79]
	s_delay_alu instid0(VALU_DEP_1) | instskip(SKIP_1) | instid1(VALU_DEP_2)
	v_add_co_u32 v78, vcc_lo, v147, v78
	s_wait_alu 0xfffd
	v_add_co_ci_u32_e32 v79, vcc_lo, v148, v79, vcc_lo
	global_store_b128 v[78:79], v[149:152], off
	v_fma_f64 v[78:79], v[48:49], s[4:5], -v[114:115]
	s_delay_alu instid0(VALU_DEP_1) | instskip(SKIP_1) | instid1(VALU_DEP_1)
	v_add_f64_e32 v[68:69], v[78:79], v[68:69]
	v_fma_f64 v[78:79], v[60:61], s[6:7], v[116:117]
	v_add_f64_e32 v[4:5], v[78:79], v[4:5]
	v_fma_f64 v[78:79], v[34:35], s[6:7], -v[118:119]
	s_delay_alu instid0(VALU_DEP_1) | instskip(SKIP_1) | instid1(VALU_DEP_1)
	v_add_f64_e32 v[68:69], v[78:79], v[68:69]
	v_fma_f64 v[78:79], v[32:33], s[14:15], v[122:123]
	v_add_f64_e32 v[4:5], v[78:79], v[4:5]
	;; [unrolled: 5-line block ×5, first 2 shown]
	v_fma_f64 v[78:79], v[6:7], s[2:3], -v[144:145]
	s_delay_alu instid0(VALU_DEP_1) | instskip(SKIP_1) | instid1(VALU_DEP_2)
	v_add_f64_e32 v[68:69], v[78:79], v[68:69]
	v_fma_f64 v[78:79], v[2:3], s[16:17], v[201:202]
	v_add_f64_e32 v[149:150], v[36:37], v[68:69]
	v_add_nc_u32_e32 v36, 0x208, v146
	s_delay_alu instid0(VALU_DEP_3) | instskip(SKIP_2) | instid1(VALU_DEP_4)
	v_add_f64_e32 v[151:152], v[78:79], v[4:5]
	v_fma_f64 v[68:69], v[48:49], s[16:17], -v[241:242]
	v_fma_f64 v[78:79], v[50:51], s[2:3], -v[94:95]
	v_mad_co_u64_u32 v[4:5], null, s8, v36, 0
	s_delay_alu instid0(VALU_DEP_1) | instskip(NEXT) | instid1(VALU_DEP_1)
	v_mad_co_u64_u32 v[36:37], null, s9, v36, v[5:6]
	v_mov_b32_e32 v5, v36
	v_fma_f64 v[36:37], v[54:55], s[16:17], v[237:238]
	s_delay_alu instid0(VALU_DEP_2) | instskip(NEXT) | instid1(VALU_DEP_1)
	v_lshlrev_b64_e32 v[4:5], 4, v[4:5]
	v_add_co_u32 v4, vcc_lo, v147, v4
	s_wait_alu 0xfffd
	s_delay_alu instid0(VALU_DEP_2) | instskip(SKIP_2) | instid1(VALU_DEP_1)
	v_add_co_ci_u32_e32 v5, vcc_lo, v148, v5, vcc_lo
	global_store_b128 v[4:5], v[149:152], off
	v_fma_f64 v[4:5], v[66:67], s[14:15], v[231:232]
	v_add_f64_e32 v[4:5], v[70:71], v[4:5]
	s_delay_alu instid0(VALU_DEP_1) | instskip(SKIP_1) | instid1(VALU_DEP_1)
	v_add_f64_e32 v[4:5], v[36:37], v[4:5]
	v_fma_f64 v[36:37], v[50:51], s[14:15], -v[239:240]
	v_add_f64_e32 v[36:37], v[199:200], v[36:37]
	s_delay_alu instid0(VALU_DEP_1) | instskip(SKIP_1) | instid1(VALU_DEP_1)
	v_add_f64_e32 v[36:37], v[68:69], v[36:37]
	v_fma_f64 v[68:69], v[60:61], s[0:1], v[243:244]
	v_add_f64_e32 v[4:5], v[68:69], v[4:5]
	v_fma_f64 v[68:69], v[34:35], s[0:1], -v[245:246]
	s_delay_alu instid0(VALU_DEP_1) | instskip(SKIP_1) | instid1(VALU_DEP_1)
	v_add_f64_e32 v[36:37], v[68:69], v[36:37]
	v_fma_f64 v[68:69], v[32:33], s[10:11], v[247:248]
	v_add_f64_e32 v[4:5], v[68:69], v[4:5]
	v_fma_f64 v[68:69], v[28:29], s[10:11], -v[249:250]
	;; [unrolled: 5-line block ×3, first 2 shown]
	s_delay_alu instid0(VALU_DEP_2) | instskip(NEXT) | instid1(VALU_DEP_2)
	v_add_f64_e32 v[4:5], v[30:31], v[4:5]
	v_add_f64_e32 v[36:37], v[68:69], v[36:37]
	v_fma_f64 v[30:31], v[54:55], s[6:7], v[102:103]
	scratch_load_b64 v[68:69], off, off offset:112 th:TH_LOAD_LU ; 8-byte Folded Reload
	v_add_f64_e32 v[4:5], v[22:23], v[4:5]
	v_add_f64_e32 v[24:25], v[24:25], v[36:37]
	scratch_load_b64 v[36:37], off, off offset:120 th:TH_LOAD_LU ; 8-byte Folded Reload
	v_fma_f64 v[22:23], v[54:55], s[12:13], v[187:188]
	v_add_f64_e32 v[151:152], v[18:19], v[4:5]
	v_add_f64_e32 v[20:21], v[20:21], v[24:25]
	v_fma_f64 v[18:19], v[48:49], s[10:11], -v[209:210]
	v_fma_f64 v[24:25], v[54:55], s[14:15], v[52:53]
	v_fma_f64 v[52:53], v[66:67], s[4:5], v[58:59]
	scratch_load_b64 v[58:59], off, off offset:96 th:TH_LOAD_LU ; 8-byte Folded Reload
	v_add_f64_e32 v[149:150], v[16:17], v[20:21]
	v_add_nc_u32_e32 v16, 0x23c, v146
	v_fma_f64 v[20:21], v[0:1], s[14:15], -v[235:236]
	v_add_f64_e32 v[52:53], v[70:71], v[52:53]
	s_delay_alu instid0(VALU_DEP_3) | instskip(NEXT) | instid1(VALU_DEP_1)
	v_mad_co_u64_u32 v[4:5], null, s8, v16, 0
	v_mad_co_u64_u32 v[16:17], null, s9, v16, v[5:6]
	s_delay_alu instid0(VALU_DEP_1) | instskip(SKIP_1) | instid1(VALU_DEP_2)
	v_mov_b32_e32 v5, v16
	v_fma_f64 v[16:17], v[54:55], s[10:11], v[205:206]
	v_lshlrev_b64_e32 v[4:5], 4, v[4:5]
	s_delay_alu instid0(VALU_DEP_1) | instskip(SKIP_1) | instid1(VALU_DEP_2)
	v_add_co_u32 v4, vcc_lo, v147, v4
	s_wait_alu 0xfffd
	v_add_co_ci_u32_e32 v5, vcc_lo, v148, v5, vcc_lo
	global_store_b128 v[4:5], v[149:152], off
	v_fma_f64 v[4:5], v[66:67], s[16:17], v[203:204]
	v_add_f64_e32 v[24:25], v[24:25], v[52:53]
	v_add_f64_e32 v[52:53], v[56:57], v[62:63]
	v_fma_f64 v[56:57], v[34:35], s[16:17], -v[195:196]
	v_fma_f64 v[62:63], v[34:35], s[14:15], -v[90:91]
	v_add_f64_e32 v[4:5], v[70:71], v[4:5]
	s_delay_alu instid0(VALU_DEP_1) | instskip(SKIP_1) | instid1(VALU_DEP_1)
	v_add_f64_e32 v[4:5], v[16:17], v[4:5]
	v_fma_f64 v[16:17], v[50:51], s[16:17], -v[207:208]
	v_add_f64_e32 v[16:17], v[199:200], v[16:17]
	s_delay_alu instid0(VALU_DEP_1) | instskip(SKIP_1) | instid1(VALU_DEP_1)
	v_add_f64_e32 v[16:17], v[18:19], v[16:17]
	v_fma_f64 v[18:19], v[60:61], s[2:3], v[211:212]
	v_add_f64_e32 v[4:5], v[18:19], v[4:5]
	v_fma_f64 v[18:19], v[34:35], s[2:3], -v[213:214]
	s_wait_loadcnt 0x1
	v_fma_f64 v[36:37], v[54:55], s[2:3], v[36:37]
	v_fma_f64 v[54:55], v[66:67], s[2:3], v[96:97]
	s_delay_alu instid0(VALU_DEP_3) | instskip(SKIP_1) | instid1(VALU_DEP_3)
	v_add_f64_e32 v[16:17], v[18:19], v[16:17]
	v_fma_f64 v[18:19], v[32:33], s[4:5], v[215:216]
	v_add_f64_e32 v[54:55], v[70:71], v[54:55]
	s_wait_loadcnt 0x0
	v_fma_f64 v[58:59], v[66:67], s[0:1], v[58:59]
	s_delay_alu instid0(VALU_DEP_3) | instskip(SKIP_1) | instid1(VALU_DEP_4)
	v_add_f64_e32 v[4:5], v[18:19], v[4:5]
	v_fma_f64 v[18:19], v[28:29], s[4:5], -v[217:218]
	v_add_f64_e32 v[30:31], v[30:31], v[54:55]
	s_delay_alu instid0(VALU_DEP_4) | instskip(NEXT) | instid1(VALU_DEP_3)
	v_add_f64_e32 v[58:59], v[70:71], v[58:59]
	v_add_f64_e32 v[16:17], v[18:19], v[16:17]
	v_fma_f64 v[18:19], v[26:27], s[12:13], v[219:220]
	s_delay_alu instid0(VALU_DEP_3) | instskip(SKIP_1) | instid1(VALU_DEP_3)
	v_add_f64_e32 v[36:37], v[36:37], v[58:59]
	v_fma_f64 v[58:59], v[32:33], s[0:1], v[197:198]
	v_add_f64_e32 v[4:5], v[18:19], v[4:5]
	v_fma_f64 v[18:19], v[14:15], s[12:13], -v[221:222]
	s_delay_alu instid0(VALU_DEP_1) | instskip(SKIP_1) | instid1(VALU_DEP_1)
	v_add_f64_e32 v[16:17], v[18:19], v[16:17]
	v_fma_f64 v[18:19], v[12:13], s[6:7], v[223:224]
	v_add_f64_e32 v[4:5], v[18:19], v[4:5]
	v_fma_f64 v[18:19], v[10:11], s[6:7], -v[225:226]
	s_delay_alu instid0(VALU_DEP_1) | instskip(SKIP_1) | instid1(VALU_DEP_1)
	v_add_f64_e32 v[16:17], v[18:19], v[16:17]
	v_fma_f64 v[18:19], v[8:9], s[0:1], v[227:228]
	v_add_f64_e32 v[4:5], v[18:19], v[4:5]
	v_fma_f64 v[18:19], v[6:7], s[0:1], -v[229:230]
	s_delay_alu instid0(VALU_DEP_1) | instskip(SKIP_1) | instid1(VALU_DEP_2)
	v_add_f64_e32 v[16:17], v[18:19], v[16:17]
	v_fma_f64 v[18:19], v[2:3], s[14:15], v[233:234]
	v_add_f64_e32 v[149:150], v[20:21], v[16:17]
	scratch_load_b64 v[20:21], off, off offset:152 th:TH_LOAD_LU ; 8-byte Folded Reload
	v_add_f64_e32 v[151:152], v[18:19], v[4:5]
	v_fma_f64 v[4:5], v[60:61], s[16:17], v[193:194]
	v_fma_f64 v[16:17], v[60:61], s[12:13], v[44:45]
	;; [unrolled: 1-line block ×4, first 2 shown]
	v_fma_f64 v[66:67], v[48:49], s[6:7], -v[100:101]
	s_delay_alu instid0(VALU_DEP_4) | instskip(NEXT) | instid1(VALU_DEP_4)
	v_add_f64_e32 v[16:17], v[16:17], v[24:25]
	v_add_f64_e32 v[18:19], v[18:19], v[30:31]
	s_delay_alu instid0(VALU_DEP_4) | instskip(SKIP_1) | instid1(VALU_DEP_2)
	v_add_f64_e32 v[44:45], v[70:71], v[44:45]
	v_add_f64_e32 v[70:71], v[199:200], v[78:79]
	;; [unrolled: 1-line block ×3, first 2 shown]
	s_delay_alu instid0(VALU_DEP_2) | instskip(SKIP_1) | instid1(VALU_DEP_3)
	v_add_f64_e32 v[54:55], v[66:67], v[70:71]
	v_fma_f64 v[66:67], v[32:33], s[12:13], v[86:87]
	v_add_f64_e32 v[4:5], v[4:5], v[22:23]
	s_delay_alu instid0(VALU_DEP_3)
	v_add_f64_e32 v[30:31], v[62:63], v[54:55]
	scratch_load_b64 v[54:55], off, off offset:56 th:TH_LOAD_LU ; 8-byte Folded Reload
	v_add_f64_e32 v[18:19], v[66:67], v[18:19]
	v_add_f64_e32 v[4:5], v[58:59], v[4:5]
	s_wait_loadcnt 0x1
	v_fma_f64 v[20:21], v[60:61], s[4:5], v[20:21]
	v_fma_f64 v[60:61], v[48:49], s[12:13], -v[191:192]
	v_fma_f64 v[48:49], v[48:49], s[2:3], -v[68:69]
	;; [unrolled: 1-line block ×3, first 2 shown]
	s_delay_alu instid0(VALU_DEP_4) | instskip(SKIP_2) | instid1(VALU_DEP_4)
	v_add_f64_e32 v[20:21], v[20:21], v[36:37]
	v_fma_f64 v[36:37], v[26:27], s[4:5], v[40:41]
	v_fma_f64 v[40:41], v[26:27], s[2:3], v[76:77]
	v_add_f64_e32 v[68:69], v[199:200], v[68:69]
	s_delay_alu instid0(VALU_DEP_3) | instskip(SKIP_1) | instid1(VALU_DEP_3)
	v_add_f64_e32 v[4:5], v[36:37], v[4:5]
	v_fma_f64 v[36:37], v[10:11], s[0:1], -v[106:107]
	v_add_f64_e32 v[44:45], v[60:61], v[68:69]
	v_fma_f64 v[60:61], v[34:35], s[12:13], -v[64:65]
	s_clause 0x1
	scratch_load_b64 v[64:65], off, off offset:80 th:TH_LOAD_LU
	scratch_load_b64 v[68:69], off, off offset:72 th:TH_LOAD_LU
	v_fma_f64 v[50:51], v[50:51], s[0:1], -v[80:81]
	v_add_f64_e32 v[22:23], v[56:57], v[44:45]
	v_add_f64_e32 v[24:25], v[60:61], v[52:53]
	v_fma_f64 v[44:45], v[28:29], s[16:17], -v[74:75]
	scratch_load_b64 v[52:53], off, off offset:64 th:TH_LOAD_LU ; 8-byte Folded Reload
	v_add_f64_e32 v[50:51], v[199:200], v[50:51]
	v_add_f64_e32 v[22:23], v[38:39], v[22:23]
	v_fma_f64 v[38:39], v[14:15], s[4:5], -v[42:43]
	v_add_f64_e32 v[24:25], v[44:45], v[24:25]
	scratch_load_b64 v[44:45], off, off offset:176 th:TH_LOAD_LU ; 8-byte Folded Reload
	v_add_f64_e32 v[48:49], v[48:49], v[50:51]
	v_fma_f64 v[50:51], v[28:29], s[12:13], -v[84:85]
	v_fma_f64 v[42:43], v[14:15], s[2:3], -v[112:113]
	v_add_f64_e32 v[22:23], v[38:39], v[22:23]
	scratch_load_b64 v[38:39], off, off offset:160 th:TH_LOAD_LU ; 8-byte Folded Reload
	v_add_f64_e32 v[30:31], v[50:51], v[30:31]
	scratch_load_b64 v[50:51], off, off offset:40 th:TH_LOAD_LU ; 8-byte Folded Reload
	;; [unrolled: 2-line block ×4, first 2 shown]
	s_wait_loadcnt 0x7
	v_fma_f64 v[34:35], v[34:35], s[4:5], -v[64:65]
	v_fma_f64 v[64:65], v[32:33], s[16:17], v[72:73]
	s_wait_loadcnt 0x6
	v_fma_f64 v[32:33], v[32:33], s[6:7], v[68:69]
	s_delay_alu instid0(VALU_DEP_3)
	v_add_f64_e32 v[34:35], v[34:35], v[48:49]
	scratch_load_b64 v[48:49], off, off offset:48 th:TH_LOAD_LU ; 8-byte Folded Reload
	s_wait_loadcnt 0x6
	v_fma_f64 v[28:29], v[28:29], s[6:7], -v[52:53]
	scratch_load_b64 v[52:53], off, off offset:184 th:TH_LOAD_LU ; 8-byte Folded Reload
	v_add_f64_e32 v[16:17], v[64:65], v[16:17]
	v_add_f64_e32 v[20:21], v[32:33], v[20:21]
	v_fma_f64 v[32:33], v[12:13], s[10:11], v[46:47]
	v_fma_f64 v[46:47], v[12:13], s[0:1], v[110:111]
	s_wait_loadcnt 0x6
	v_fma_f64 v[44:45], v[14:15], s[10:11], -v[44:45]
	v_add_f64_e32 v[28:29], v[28:29], v[34:35]
	v_fma_f64 v[34:35], v[10:11], s[10:11], -v[138:139]
	v_add_f64_e32 v[16:17], v[40:41], v[16:17]
	scratch_load_b64 v[40:41], off, off offset:32 th:TH_LOAD_LU ; 8-byte Folded Reload
	v_add_f64_e32 v[4:5], v[32:33], v[4:5]
	v_fma_f64 v[32:33], v[6:7], s[6:7], -v[98:99]
	s_wait_loadcnt 0x6
	v_fma_f64 v[38:39], v[10:11], s[16:17], -v[38:39]
	v_add_f64_e32 v[30:31], v[44:45], v[30:31]
	scratch_load_b64 v[44:45], off, off offset:24 th:TH_LOAD_LU ; 8-byte Folded Reload
	v_add_f64_e32 v[22:23], v[34:35], v[22:23]
	scratch_load_b64 v[34:35], off, off offset:136 th:TH_LOAD_LU ; 8-byte Folded Reload
	v_add_f64_e32 v[16:17], v[46:47], v[16:17]
	s_wait_loadcnt 0x6
	v_fma_f64 v[42:43], v[8:9], s[4:5], v[42:43]
	v_add_f64_e32 v[30:31], v[38:39], v[30:31]
	scratch_load_b64 v[38:39], off, off offset:128 th:TH_LOAD_LU ; 8-byte Folded Reload
	s_wait_loadcnt 0x5
	v_fma_f64 v[14:15], v[14:15], s[16:17], -v[48:49]
	scratch_load_b64 v[48:49], off, off offset:168 th:TH_LOAD_LU ; 8-byte Folded Reload
	s_wait_loadcnt 0x5
	v_fma_f64 v[52:53], v[26:27], s[10:11], v[52:53]
	v_fma_f64 v[26:27], v[26:27], s[16:17], v[54:55]
	v_add_f64_e32 v[14:15], v[14:15], v[28:29]
	v_fma_f64 v[28:29], v[6:7], s[14:15], -v[130:131]
	s_delay_alu instid0(VALU_DEP_4) | instskip(NEXT) | instid1(VALU_DEP_4)
	v_add_f64_e32 v[18:19], v[52:53], v[18:19]
	v_add_f64_e32 v[20:21], v[26:27], v[20:21]
	s_wait_loadcnt 0x4
	v_fma_f64 v[10:11], v[10:11], s[14:15], -v[40:41]
	v_fma_f64 v[26:27], v[8:9], s[14:15], v[136:137]
	v_fma_f64 v[40:41], v[8:9], s[6:7], v[104:105]
	s_wait_loadcnt 0x3
	v_fma_f64 v[8:9], v[8:9], s[10:11], v[44:45]
	scratch_load_b64 v[44:45], off, off offset:8 th:TH_LOAD_LU ; 8-byte Folded Reload
	s_wait_loadcnt 0x3
	v_fma_f64 v[34:35], v[6:7], s[4:5], -v[34:35]
	v_fma_f64 v[6:7], v[6:7], s[10:11], -v[36:37]
	v_add_f64_e32 v[4:5], v[26:27], v[4:5]
	scratch_load_b64 v[26:27], off, off offset:104 th:TH_LOAD_LU ; 8-byte Folded Reload
	v_fma_f64 v[36:37], v[2:3], s[10:11], v[92:93]
	s_wait_loadcnt 0x3
	v_fma_f64 v[38:39], v[2:3], s[0:1], v[38:39]
	v_add_f64_e32 v[30:31], v[34:35], v[30:31]
	s_wait_loadcnt 0x2
	v_fma_f64 v[48:49], v[12:13], s[16:17], v[48:49]
	v_fma_f64 v[12:13], v[12:13], s[14:15], v[50:51]
	s_delay_alu instid0(VALU_DEP_2) | instskip(NEXT) | instid1(VALU_DEP_2)
	v_add_f64_e32 v[18:19], v[48:49], v[18:19]
	v_add_f64_e32 v[12:13], v[12:13], v[20:21]
	v_fma_f64 v[20:21], v[2:3], s[2:3], v[124:125]
	s_delay_alu instid0(VALU_DEP_3)
	v_add_f64_e32 v[18:19], v[42:43], v[18:19]
	s_wait_loadcnt 0x1
	v_fma_f64 v[44:45], v[2:3], s[12:13], v[44:45]
	v_add_f64_e32 v[2:3], v[10:11], v[14:15]
	v_add_f64_e32 v[10:11], v[28:29], v[22:23]
	scratch_load_b64 v[28:29], off, off th:TH_LOAD_LU ; 8-byte Folded Reload
	v_fma_f64 v[22:23], v[0:1], s[2:3], -v[120:121]
	v_add_f64_e32 v[14:15], v[40:41], v[16:17]
	v_add_f64_e32 v[16:17], v[32:33], v[24:25]
	v_fma_f64 v[24:25], v[0:1], s[10:11], -v[88:89]
	s_wait_loadcnt 0x1
	v_fma_f64 v[26:27], v[0:1], s[0:1], -v[26:27]
	v_add_f64_e32 v[12:13], v[8:9], v[12:13]
	v_add_nc_u32_e32 v42, 0x2d8, v146
	v_add_nc_u32_e32 v40, 0x270, v146
	s_delay_alu instid0(VALU_DEP_1) | instskip(NEXT) | instid1(VALU_DEP_1)
	v_mad_co_u64_u32 v[34:35], null, s8, v40, 0
	v_mov_b32_e32 v8, v35
	v_add_f64_e32 v[32:33], v[6:7], v[2:3]
	v_add_f64_e32 v[2:3], v[20:21], v[4:5]
	;; [unrolled: 1-line block ×3, first 2 shown]
	v_add_nc_u32_e32 v36, 0x30c, v146
	v_or_b32_e32 v37, 0x340, v146
	v_add_f64_e32 v[4:5], v[24:25], v[16:17]
	v_add_f64_e32 v[14:15], v[44:45], v[12:13]
	s_wait_loadcnt 0x0
	v_fma_f64 v[28:29], v[0:1], s[12:13], -v[28:29]
	v_add_f64_e32 v[0:1], v[22:23], v[10:11]
	v_mad_co_u64_u32 v[22:23], null, s8, v42, 0
	v_add_nc_u32_e32 v41, 0x2a4, v146
	s_delay_alu instid0(VALU_DEP_1) | instskip(NEXT) | instid1(VALU_DEP_1)
	v_mad_co_u64_u32 v[20:21], null, s8, v41, 0
	v_mov_b32_e32 v9, v21
	s_delay_alu instid0(VALU_DEP_1) | instskip(SKIP_1) | instid1(VALU_DEP_1)
	v_mad_co_u64_u32 v[10:11], null, s9, v40, v[8:9]
	v_mov_b32_e32 v8, v23
	v_mad_co_u64_u32 v[23:24], null, s9, v42, v[8:9]
	v_mad_co_u64_u32 v[24:25], null, s8, v36, 0
	s_delay_alu instid0(VALU_DEP_4)
	v_mad_co_u64_u32 v[16:17], null, s9, v41, v[9:10]
	v_mov_b32_e32 v35, v10
	v_add_f64_e32 v[10:11], v[38:39], v[18:19]
	v_add_f64_e32 v[8:9], v[26:27], v[30:31]
	v_mad_co_u64_u32 v[17:18], null, s8, v37, 0
	v_mov_b32_e32 v19, v25
	v_lshlrev_b64_e32 v[25:26], 4, v[34:35]
	v_mov_b32_e32 v21, v16
	v_add_f64_e32 v[12:13], v[28:29], v[32:33]
	s_delay_alu instid0(VALU_DEP_4) | instskip(SKIP_1) | instid1(VALU_DEP_4)
	v_mad_co_u64_u32 v[27:28], null, s9, v36, v[19:20]
	v_mov_b32_e32 v16, v18
	v_lshlrev_b64_e32 v[18:19], 4, v[20:21]
	v_add_co_u32 v28, vcc_lo, v147, v25
	s_wait_alu 0xfffd
	v_add_co_ci_u32_e32 v29, vcc_lo, v148, v26, vcc_lo
	v_mad_co_u64_u32 v[20:21], null, s9, v37, v[16:17]
	v_lshlrev_b64_e32 v[21:22], 4, v[22:23]
	v_add_co_u32 v26, vcc_lo, v147, v18
	v_mov_b32_e32 v25, v27
	s_wait_alu 0xfffd
	v_add_co_ci_u32_e32 v27, vcc_lo, v148, v19, vcc_lo
	v_mov_b32_e32 v18, v20
	v_add_co_u32 v19, vcc_lo, v147, v21
	s_wait_alu 0xfffd
	v_add_co_ci_u32_e32 v20, vcc_lo, v148, v22, vcc_lo
	v_lshlrev_b64_e32 v[23:24], 4, v[24:25]
	v_lshlrev_b64_e32 v[16:17], 4, v[17:18]
	s_delay_alu instid0(VALU_DEP_2) | instskip(SKIP_1) | instid1(VALU_DEP_3)
	v_add_co_u32 v21, vcc_lo, v147, v23
	s_wait_alu 0xfffd
	v_add_co_ci_u32_e32 v22, vcc_lo, v148, v24, vcc_lo
	s_delay_alu instid0(VALU_DEP_3)
	v_add_co_u32 v16, vcc_lo, v147, v16
	s_wait_alu 0xfffd
	v_add_co_ci_u32_e32 v17, vcc_lo, v148, v17, vcc_lo
	s_clause 0x4
	global_store_b128 v[28:29], v[149:152], off
	global_store_b128 v[26:27], v[0:3], off
	;; [unrolled: 1-line block ×5, first 2 shown]
	s_endpgm
	.section	.rodata,"a",@progbits
	.p2align	6, 0x0
	.amdhsa_kernel fft_rtc_back_len884_factors_13_4_17_wgs_204_tpt_68_halfLds_dp_ip_CI_sbrr_dirReg
		.amdhsa_group_segment_fixed_size 0
		.amdhsa_private_segment_fixed_size 196
		.amdhsa_kernarg_size 88
		.amdhsa_user_sgpr_count 2
		.amdhsa_user_sgpr_dispatch_ptr 0
		.amdhsa_user_sgpr_queue_ptr 0
		.amdhsa_user_sgpr_kernarg_segment_ptr 1
		.amdhsa_user_sgpr_dispatch_id 0
		.amdhsa_user_sgpr_private_segment_size 0
		.amdhsa_wavefront_size32 1
		.amdhsa_uses_dynamic_stack 0
		.amdhsa_enable_private_segment 1
		.amdhsa_system_sgpr_workgroup_id_x 1
		.amdhsa_system_sgpr_workgroup_id_y 0
		.amdhsa_system_sgpr_workgroup_id_z 0
		.amdhsa_system_sgpr_workgroup_info 0
		.amdhsa_system_vgpr_workitem_id 0
		.amdhsa_next_free_vgpr 255
		.amdhsa_next_free_sgpr 50
		.amdhsa_reserve_vcc 1
		.amdhsa_float_round_mode_32 0
		.amdhsa_float_round_mode_16_64 0
		.amdhsa_float_denorm_mode_32 3
		.amdhsa_float_denorm_mode_16_64 3
		.amdhsa_fp16_overflow 0
		.amdhsa_workgroup_processor_mode 1
		.amdhsa_memory_ordered 1
		.amdhsa_forward_progress 0
		.amdhsa_round_robin_scheduling 0
		.amdhsa_exception_fp_ieee_invalid_op 0
		.amdhsa_exception_fp_denorm_src 0
		.amdhsa_exception_fp_ieee_div_zero 0
		.amdhsa_exception_fp_ieee_overflow 0
		.amdhsa_exception_fp_ieee_underflow 0
		.amdhsa_exception_fp_ieee_inexact 0
		.amdhsa_exception_int_div_zero 0
	.end_amdhsa_kernel
	.text
.Lfunc_end0:
	.size	fft_rtc_back_len884_factors_13_4_17_wgs_204_tpt_68_halfLds_dp_ip_CI_sbrr_dirReg, .Lfunc_end0-fft_rtc_back_len884_factors_13_4_17_wgs_204_tpt_68_halfLds_dp_ip_CI_sbrr_dirReg
                                        ; -- End function
	.section	.AMDGPU.csdata,"",@progbits
; Kernel info:
; codeLenInByte = 15032
; NumSgprs: 52
; NumVgprs: 255
; ScratchSize: 196
; MemoryBound: 1
; FloatMode: 240
; IeeeMode: 1
; LDSByteSize: 0 bytes/workgroup (compile time only)
; SGPRBlocks: 6
; VGPRBlocks: 31
; NumSGPRsForWavesPerEU: 52
; NumVGPRsForWavesPerEU: 255
; Occupancy: 5
; WaveLimiterHint : 1
; COMPUTE_PGM_RSRC2:SCRATCH_EN: 1
; COMPUTE_PGM_RSRC2:USER_SGPR: 2
; COMPUTE_PGM_RSRC2:TRAP_HANDLER: 0
; COMPUTE_PGM_RSRC2:TGID_X_EN: 1
; COMPUTE_PGM_RSRC2:TGID_Y_EN: 0
; COMPUTE_PGM_RSRC2:TGID_Z_EN: 0
; COMPUTE_PGM_RSRC2:TIDIG_COMP_CNT: 0
	.text
	.p2alignl 7, 3214868480
	.fill 96, 4, 3214868480
	.type	__hip_cuid_d2613a04c6ca679,@object ; @__hip_cuid_d2613a04c6ca679
	.section	.bss,"aw",@nobits
	.globl	__hip_cuid_d2613a04c6ca679
__hip_cuid_d2613a04c6ca679:
	.byte	0                               ; 0x0
	.size	__hip_cuid_d2613a04c6ca679, 1

	.ident	"AMD clang version 19.0.0git (https://github.com/RadeonOpenCompute/llvm-project roc-6.4.0 25133 c7fe45cf4b819c5991fe208aaa96edf142730f1d)"
	.section	".note.GNU-stack","",@progbits
	.addrsig
	.addrsig_sym __hip_cuid_d2613a04c6ca679
	.amdgpu_metadata
---
amdhsa.kernels:
  - .args:
      - .actual_access:  read_only
        .address_space:  global
        .offset:         0
        .size:           8
        .value_kind:     global_buffer
      - .offset:         8
        .size:           8
        .value_kind:     by_value
      - .actual_access:  read_only
        .address_space:  global
        .offset:         16
        .size:           8
        .value_kind:     global_buffer
      - .actual_access:  read_only
        .address_space:  global
        .offset:         24
        .size:           8
        .value_kind:     global_buffer
      - .offset:         32
        .size:           8
        .value_kind:     by_value
      - .actual_access:  read_only
        .address_space:  global
        .offset:         40
        .size:           8
        .value_kind:     global_buffer
      - .actual_access:  read_only
        .address_space:  global
        .offset:         48
        .size:           8
        .value_kind:     global_buffer
      - .offset:         56
        .size:           4
        .value_kind:     by_value
      - .actual_access:  read_only
        .address_space:  global
        .offset:         64
        .size:           8
        .value_kind:     global_buffer
      - .actual_access:  read_only
        .address_space:  global
        .offset:         72
        .size:           8
        .value_kind:     global_buffer
      - .address_space:  global
        .offset:         80
        .size:           8
        .value_kind:     global_buffer
    .group_segment_fixed_size: 0
    .kernarg_segment_align: 8
    .kernarg_segment_size: 88
    .language:       OpenCL C
    .language_version:
      - 2
      - 0
    .max_flat_workgroup_size: 204
    .name:           fft_rtc_back_len884_factors_13_4_17_wgs_204_tpt_68_halfLds_dp_ip_CI_sbrr_dirReg
    .private_segment_fixed_size: 196
    .sgpr_count:     52
    .sgpr_spill_count: 0
    .symbol:         fft_rtc_back_len884_factors_13_4_17_wgs_204_tpt_68_halfLds_dp_ip_CI_sbrr_dirReg.kd
    .uniform_work_group_size: 1
    .uses_dynamic_stack: false
    .vgpr_count:     255
    .vgpr_spill_count: 48
    .wavefront_size: 32
    .workgroup_processor_mode: 1
amdhsa.target:   amdgcn-amd-amdhsa--gfx1201
amdhsa.version:
  - 1
  - 2
...

	.end_amdgpu_metadata
